;; amdgpu-corpus repo=pytorch/pytorch kind=compiled arch=gfx90a opt=O3
	.text
	.amdgcn_target "amdgcn-amd-amdhsa--gfx90a"
	.amdhsa_code_object_version 6
	.section	.text._ZN12_GLOBAL__N_137randperm_handle_duplicate_keys_kernelIiN2at6native12_GLOBAL__N_110OpaqueTypeILi1EEEEEvPT_PT0_S6_iNS1_15PhiloxCudaStateE,"axG",@progbits,_ZN12_GLOBAL__N_137randperm_handle_duplicate_keys_kernelIiN2at6native12_GLOBAL__N_110OpaqueTypeILi1EEEEEvPT_PT0_S6_iNS1_15PhiloxCudaStateE,comdat
	.globl	_ZN12_GLOBAL__N_137randperm_handle_duplicate_keys_kernelIiN2at6native12_GLOBAL__N_110OpaqueTypeILi1EEEEEvPT_PT0_S6_iNS1_15PhiloxCudaStateE ; -- Begin function _ZN12_GLOBAL__N_137randperm_handle_duplicate_keys_kernelIiN2at6native12_GLOBAL__N_110OpaqueTypeILi1EEEEEvPT_PT0_S6_iNS1_15PhiloxCudaStateE
	.p2align	8
	.type	_ZN12_GLOBAL__N_137randperm_handle_duplicate_keys_kernelIiN2at6native12_GLOBAL__N_110OpaqueTypeILi1EEEEEvPT_PT0_S6_iNS1_15PhiloxCudaStateE,@function
_ZN12_GLOBAL__N_137randperm_handle_duplicate_keys_kernelIiN2at6native12_GLOBAL__N_110OpaqueTypeILi1EEEEEvPT_PT0_S6_iNS1_15PhiloxCudaStateE: ; @_ZN12_GLOBAL__N_137randperm_handle_duplicate_keys_kernelIiN2at6native12_GLOBAL__N_110OpaqueTypeILi1EEEEEvPT_PT0_S6_iNS1_15PhiloxCudaStateE
; %bb.0:
	s_load_dword s0, s[4:5], 0x44
	s_load_dwordx2 s[12:13], s[4:5], 0x10
	s_waitcnt lgkmcnt(0)
	s_and_b32 s0, s0, 0xffff
	s_mul_i32 s6, s6, s0
	v_add_u32_e32 v0, s6, v0
	s_add_i32 s0, s13, -1
	v_cmp_gt_i32_e32 vcc, s0, v0
	s_and_saveexec_b64 s[0:1], vcc
	s_cbranch_execz .LBB0_18
; %bb.1:
	s_load_dwordx4 s[0:3], s[4:5], 0x0
	v_ashrrev_i32_e32 v1, 31, v0
	v_lshlrev_b64 v[2:3], 2, v[0:1]
	s_waitcnt lgkmcnt(0)
	v_mov_b32_e32 v4, s1
	v_add_co_u32_e32 v2, vcc, s0, v2
	v_addc_co_u32_e32 v3, vcc, v4, v3, vcc
	global_load_dwordx2 v[4:5], v[2:3], off
	s_waitcnt vmcnt(0)
	v_and_b32_e32 v6, s12, v4
	v_and_b32_e32 v5, s12, v5
	v_cmp_eq_u32_e32 vcc, v6, v5
	s_and_b64 exec, exec, vcc
	s_cbranch_execz .LBB0_18
; %bb.2:
	v_cmp_eq_u32_e64 s[0:1], 0, v0
	v_cmp_ne_u32_e32 vcc, 0, v0
	s_and_saveexec_b64 s[6:7], vcc
	s_cbranch_execz .LBB0_4
; %bb.3:
	global_load_dword v5, v[2:3], off offset:-4
	s_andn2_b64 s[0:1], s[0:1], exec
	s_waitcnt vmcnt(0)
	v_and_b32_e32 v5, s12, v5
	v_cmp_ne_u32_e32 vcc, v6, v5
	s_and_b64 s[8:9], vcc, exec
	s_or_b64 s[0:1], s[0:1], s[8:9]
.LBB0_4:
	s_or_b64 exec, exec, s[6:7]
	s_and_b64 exec, exec, s[0:1]
	s_cbranch_execz .LBB0_18
; %bb.5:
	s_load_dwordx4 s[8:11], s[4:5], 0x18
	s_load_dwordx2 s[0:1], s[4:5], 0x28
	s_load_dword s24, s[4:5], 0x30
	v_add_co_u32_e32 v6, vcc, 4, v2
	v_addc_co_u32_e32 v7, vcc, 0, v3, vcc
	v_add_u32_e32 v8, 1, v0
	s_mov_b64 s[4:5], 0
	s_mov_b64 s[18:19], 0
                                        ; implicit-def: $sgpr6_sgpr7
                                        ; implicit-def: $sgpr16_sgpr17
                                        ; implicit-def: $sgpr14_sgpr15
	s_branch .LBB0_7
.LBB0_6:                                ;   in Loop: Header=BB0_7 Depth=1
	s_or_b64 exec, exec, s[22:23]
	s_and_b64 s[22:23], exec, s[16:17]
	s_or_b64 s[4:5], s[22:23], s[4:5]
	v_pk_mov_b32 v[2:3], s[18:19], s[18:19] op_sel:[0,1]
	s_andn2_b64 s[6:7], s[6:7], exec
	s_and_b64 s[18:19], s[14:15], exec
	s_or_b64 s[6:7], s[6:7], s[18:19]
	s_mov_b64 s[18:19], s[20:21]
	s_andn2_b64 exec, exec, s[4:5]
	s_cbranch_execz .LBB0_9
.LBB0_7:                                ; =>This Inner Loop Header: Depth=1
	v_add_u32_e32 v2, s18, v8
	v_cmp_gt_i32_e32 vcc, s13, v2
	s_or_b64 s[14:15], s[14:15], exec
	s_or_b64 s[16:17], s[16:17], exec
                                        ; implicit-def: $sgpr20_sgpr21
	s_and_saveexec_b64 s[22:23], vcc
	s_cbranch_execz .LBB0_6
; %bb.8:                                ;   in Loop: Header=BB0_7 Depth=1
	global_load_dword v2, v[6:7], off
	v_add_co_u32_e32 v6, vcc, 4, v6
	v_addc_co_u32_e32 v7, vcc, 0, v7, vcc
	s_add_u32 s20, s18, 1
	s_addc_u32 s21, s19, 0
	s_andn2_b64 s[16:17], s[16:17], exec
	s_andn2_b64 s[14:15], s[14:15], exec
	s_waitcnt vmcnt(0)
	v_xor_b32_e32 v2, v2, v4
	v_and_b32_e32 v2, s12, v2
	v_cmp_ne_u32_e32 vcc, 0, v2
	s_and_b64 s[26:27], vcc, exec
	s_or_b64 s[16:17], s[16:17], s[26:27]
	s_branch .LBB0_6
.LBB0_9:
	s_or_b64 exec, exec, s[4:5]
	s_xor_b64 s[4:5], s[6:7], -1
	s_and_saveexec_b64 s[6:7], s[4:5]
	s_xor_b64 s[4:5], exec, s[6:7]
	s_andn2_saveexec_b64 s[4:5], s[4:5]
	s_or_b64 exec, exec, s[4:5]
	s_waitcnt lgkmcnt(0)
	s_bitcmp0_b32 s24, 0
	v_pk_mov_b32 v[10:11], s[10:11], s[10:11] op_sel:[0,1]
	v_pk_mov_b32 v[4:5], s[8:9], s[8:9] op_sel:[0,1]
	s_cbranch_scc1 .LBB0_11
; %bb.10:
	v_pk_mov_b32 v[4:5], s[10:11], s[10:11] op_sel:[0,1]
	flat_load_dwordx2 v[6:7], v[4:5]
	v_pk_mov_b32 v[4:5], s[8:9], s[8:9] op_sel:[0,1]
	flat_load_dwordx2 v[4:5], v[4:5]
	v_mov_b32_e32 v8, s1
	s_waitcnt vmcnt(0) lgkmcnt(0)
	v_add_co_u32_e32 v10, vcc, s0, v6
	v_addc_co_u32_e32 v11, vcc, v7, v8, vcc
.LBB0_11:
	v_cmp_ne_u32_e32 vcc, 0, v2
	s_and_b64 exec, exec, vcc
	s_cbranch_execz .LBB0_18
; %bb.12:
	v_mov_b32_e32 v6, s3
	v_add_co_u32_e32 v16, vcc, s2, v0
	s_mov_b32 s0, 0x5384540f
	v_mov_b32_e32 v8, v5
	v_addc_co_u32_e32 v17, vcc, v6, v1, vcc
	v_add_co_u32_e32 v20, vcc, s0, v4
	s_mov_b32 s0, 0x646e171e
	v_add_co_u32_e32 v21, vcc, s0, v8
	s_mov_b32 s0, 0x1715609d
	;; [unrolled: 2-line block ×6, first 2 shown]
	v_alignbit_b32 v27, v11, v10, 2
	s_mov_b32 s4, 0xd2511f53
	v_add_co_u32_e32 v26, vcc, s0, v4
	v_xor_b32_e32 v9, v5, v1
	v_mad_u64_u32 v[6:7], s[0:1], v27, s4, 0
	v_xor_b32_e32 v7, v9, v7
	s_mov_b32 s5, 0xcd9e8d57
	v_mad_u64_u32 v[12:13], s[0:1], v7, s5, 0
	v_xor_b32_e32 v7, v26, v13
	v_mad_u64_u32 v[28:29], s[0:1], v0, s5, 0
	v_xor_b32_e32 v7, v7, v28
	v_xor_b32_e32 v9, v29, v4
	v_lshrrev_b32_e32 v28, 2, v11
	v_mad_u64_u32 v[32:33], s[0:1], v7, s4, 0
	v_xor_b32_e32 v9, v9, v28
	v_xor_b32_e32 v7, v25, v33
	v_mad_u64_u32 v[30:31], s[0:1], v9, s4, 0
	v_xor_b32_e32 v7, v7, v30
	v_mad_u64_u32 v[34:35], s[0:1], v7, s5, 0
	s_mov_b32 s0, 0xbb67ae85
	v_add_co_u32_e32 v29, vcc, s0, v8
	v_xor_b32_e32 v7, v29, v31
	v_xor_b32_e32 v6, v7, v6
	v_xor_b32_e32 v9, v24, v35
	v_mad_u64_u32 v[6:7], s[0:1], v6, s5, 0
	v_xor_b32_e32 v6, v9, v6
	v_mad_u64_u32 v[36:37], s[0:1], v6, s4, 0
	s_mov_b32 s0, 0x3c6ef372
	v_add_co_u32_e32 v30, vcc, s0, v4
	v_xor_b32_e32 v6, v30, v7
	;; [unrolled: 8-line block ×6, first 2 shown]
	v_add_co_u32_e32 v19, vcc, 0xdb3d7428, v8
	v_xor_b32_e32 v7, v7, v12
	v_xor_b32_e32 v6, v19, v37
	v_mad_u64_u32 v[12:13], s[0:1], v7, s4, 0
	v_xor_b32_e32 v6, v6, v12
	v_mad_u64_u32 v[6:7], s[0:1], v6, s5, 0
	s_mov_b32 s0, 0x1fd5c5a3
	v_add_co_u32_e32 v35, vcc, s0, v8
	v_xor_b32_e32 v8, v35, v13
	v_xor_b32_e32 v8, v8, v38
	v_mad_u64_u32 v[8:9], s[0:1], v8, s5, 0
	v_add_u32_e32 v14, 0x8ff34781, v4
	v_xor_b32_e32 v7, v7, v8
	s_mov_b32 s0, 0xf1bbcdc8
	v_xor_b32_e32 v37, v14, v7
	v_add_co_u32_e32 v7, vcc, s0, v4
	v_xor_b32_e32 v8, v7, v9
	v_xor_b32_e32 v8, v8, v40
	v_mad_u64_u32 v[8:9], s[0:1], v8, s4, 0
	v_add_u32_e32 v15, 0x96a522ad, v5
	v_xor_b32_e32 v9, v9, v36
	v_xor_b32_e32 v38, v15, v9
	v_not_b32_e32 v18, v2
	v_and_b32_e32 v36, 3, v10
	s_mov_b64 s[0:1], 0
	v_mov_b32_e32 v13, v37
	v_mov_b32_e32 v11, v38
	s_branch .LBB0_14
.LBB0_13:                               ;   in Loop: Header=BB0_14 Depth=1
	s_or_b64 exec, exec, s[2:3]
	v_add_co_u32_e32 v36, vcc, -1, v2
	v_addc_co_u32_e32 v37, vcc, -1, v3, vcc
	v_cmp_gt_i32_e32 vcc, 2, v2
	v_add_u32_e32 v18, 1, v18
	s_or_b64 s[0:1], vcc, s[0:1]
	v_pk_mov_b32 v[2:3], v[36:37], v[36:37] op_sel:[0,1]
	v_mov_b32_e32 v36, v9
	v_mov_b32_e32 v37, v13
	;; [unrolled: 1-line block ×5, first 2 shown]
	s_andn2_b64 exec, exec, s[0:1]
	s_cbranch_execz .LBB0_18
.LBB0_14:                               ; =>This Inner Loop Header: Depth=1
	v_add_u32_e32 v9, 1, v36
	v_cmp_eq_u32_e32 vcc, 4, v9
	v_mov_b32_e32 v12, v6
	v_mov_b32_e32 v10, v8
	s_and_saveexec_b64 s[2:3], vcc
	s_cbranch_execz .LBB0_16
; %bb.15:                               ;   in Loop: Header=BB0_14 Depth=1
	v_add_co_u32_e32 v27, vcc, 1, v27
	v_cndmask_b32_e64 v10, 0, 1, vcc
	v_addc_co_u32_e32 v28, vcc, 0, v28, vcc
	v_cmp_eq_u32_e32 vcc, 0, v28
	v_cndmask_b32_e32 v10, 0, v10, vcc
	v_add_u32_e32 v0, v10, v0
	v_cmp_eq_u32_e32 vcc, 0, v0
	v_cndmask_b32_e32 v10, 0, v10, vcc
	v_add_u32_e32 v1, v10, v1
	v_mad_u64_u32 v[10:11], s[6:7], v27, s4, 0
	v_mad_u64_u32 v[12:13], s[6:7], v0, s5, 0
	v_xor_b32_e32 v11, v11, v5
	v_xor_b32_e32 v13, v13, v4
	v_xor_b32_e32 v11, v1, v11
	v_xor_b32_e32 v13, v28, v13
	v_mad_u64_u32 v[42:43], s[6:7], v11, s5, 0
	v_mad_u64_u32 v[40:41], s[6:7], v13, s4, 0
	v_xor_b32_e32 v11, v26, v43
	v_xor_b32_e32 v11, v11, v12
	v_xor_b32_e32 v12, v29, v41
	v_xor_b32_e32 v12, v12, v10
	;; [unrolled: 6-line block ×9, first 2 shown]
	v_mad_u64_u32 v[10:11], s[6:7], v10, s4, 0
	v_mad_u64_u32 v[12:13], s[6:7], v12, s5, 0
	v_xor_b32_e32 v13, v13, v46
	v_xor_b32_e32 v11, v11, v44
	v_mov_b32_e32 v9, 0
	v_xor_b32_e32 v13, v14, v13
	v_xor_b32_e32 v11, v15, v11
.LBB0_16:                               ;   in Loop: Header=BB0_14 Depth=1
	s_or_b64 exec, exec, s[2:3]
	v_add_u32_e32 v39, 1, v2
	v_cvt_f32_u32_e32 v40, v39
	v_cmp_eq_u32_e32 vcc, 1, v36
	v_cndmask_b32_e32 v6, v37, v6, vcc
	v_cmp_eq_u32_e32 vcc, 2, v36
	v_rcp_iflag_f32_e32 v40, v40
	v_cndmask_b32_e32 v6, v6, v38, vcc
	v_cmp_eq_u32_e32 vcc, 3, v36
	v_cndmask_b32_e32 v6, v6, v8, vcc
	v_mul_f32_e32 v37, 0x4f7ffffe, v40
	v_cvt_u32_f32_e32 v37, v37
	v_mul_lo_u32 v8, v18, v37
	v_mul_hi_u32 v8, v37, v8
	v_add_u32_e32 v8, v37, v8
	v_mul_hi_u32 v8, v6, v8
	v_mul_lo_u32 v8, v8, v39
	v_sub_u32_e32 v6, v6, v8
	v_sub_u32_e32 v8, v6, v39
	v_cmp_ge_u32_e32 vcc, v6, v39
	v_cndmask_b32_e32 v6, v6, v8, vcc
	v_add_u32_e32 v8, v6, v18
	v_cmp_ge_u32_e32 vcc, v6, v39
	v_cndmask_b32_e32 v6, v6, v8, vcc
	v_cmp_ne_u32_e32 vcc, v2, v6
	s_and_saveexec_b64 s[2:3], vcc
	s_cbranch_execz .LBB0_13
; %bb.17:                               ;   in Loop: Header=BB0_14 Depth=1
	v_add_co_u32_e32 v36, vcc, v16, v6
	v_addc_co_u32_e32 v37, vcc, 0, v17, vcc
	v_add_co_u32_e32 v38, vcc, v16, v2
	v_addc_co_u32_e32 v39, vcc, v17, v3, vcc
	global_load_ubyte v6, v[36:37], off
	global_load_ubyte v8, v[38:39], off
	s_waitcnt vmcnt(1)
	global_store_byte v[38:39], v6, off
	s_waitcnt vmcnt(1)
	global_store_byte v[36:37], v8, off
	s_branch .LBB0_13
.LBB0_18:
	s_endpgm
	.section	.rodata,"a",@progbits
	.p2align	6, 0x0
	.amdhsa_kernel _ZN12_GLOBAL__N_137randperm_handle_duplicate_keys_kernelIiN2at6native12_GLOBAL__N_110OpaqueTypeILi1EEEEEvPT_PT0_S6_iNS1_15PhiloxCudaStateE
		.amdhsa_group_segment_fixed_size 0
		.amdhsa_private_segment_fixed_size 0
		.amdhsa_kernarg_size 312
		.amdhsa_user_sgpr_count 6
		.amdhsa_user_sgpr_private_segment_buffer 1
		.amdhsa_user_sgpr_dispatch_ptr 0
		.amdhsa_user_sgpr_queue_ptr 0
		.amdhsa_user_sgpr_kernarg_segment_ptr 1
		.amdhsa_user_sgpr_dispatch_id 0
		.amdhsa_user_sgpr_flat_scratch_init 0
		.amdhsa_user_sgpr_kernarg_preload_length 0
		.amdhsa_user_sgpr_kernarg_preload_offset 0
		.amdhsa_user_sgpr_private_segment_size 0
		.amdhsa_uses_dynamic_stack 0
		.amdhsa_system_sgpr_private_segment_wavefront_offset 0
		.amdhsa_system_sgpr_workgroup_id_x 1
		.amdhsa_system_sgpr_workgroup_id_y 0
		.amdhsa_system_sgpr_workgroup_id_z 0
		.amdhsa_system_sgpr_workgroup_info 0
		.amdhsa_system_vgpr_workitem_id 0
		.amdhsa_next_free_vgpr 48
		.amdhsa_next_free_sgpr 28
		.amdhsa_accum_offset 48
		.amdhsa_reserve_vcc 1
		.amdhsa_reserve_flat_scratch 0
		.amdhsa_float_round_mode_32 0
		.amdhsa_float_round_mode_16_64 0
		.amdhsa_float_denorm_mode_32 3
		.amdhsa_float_denorm_mode_16_64 3
		.amdhsa_dx10_clamp 1
		.amdhsa_ieee_mode 1
		.amdhsa_fp16_overflow 0
		.amdhsa_tg_split 0
		.amdhsa_exception_fp_ieee_invalid_op 0
		.amdhsa_exception_fp_denorm_src 0
		.amdhsa_exception_fp_ieee_div_zero 0
		.amdhsa_exception_fp_ieee_overflow 0
		.amdhsa_exception_fp_ieee_underflow 0
		.amdhsa_exception_fp_ieee_inexact 0
		.amdhsa_exception_int_div_zero 0
	.end_amdhsa_kernel
	.section	.text._ZN12_GLOBAL__N_137randperm_handle_duplicate_keys_kernelIiN2at6native12_GLOBAL__N_110OpaqueTypeILi1EEEEEvPT_PT0_S6_iNS1_15PhiloxCudaStateE,"axG",@progbits,_ZN12_GLOBAL__N_137randperm_handle_duplicate_keys_kernelIiN2at6native12_GLOBAL__N_110OpaqueTypeILi1EEEEEvPT_PT0_S6_iNS1_15PhiloxCudaStateE,comdat
.Lfunc_end0:
	.size	_ZN12_GLOBAL__N_137randperm_handle_duplicate_keys_kernelIiN2at6native12_GLOBAL__N_110OpaqueTypeILi1EEEEEvPT_PT0_S6_iNS1_15PhiloxCudaStateE, .Lfunc_end0-_ZN12_GLOBAL__N_137randperm_handle_duplicate_keys_kernelIiN2at6native12_GLOBAL__N_110OpaqueTypeILi1EEEEEvPT_PT0_S6_iNS1_15PhiloxCudaStateE
                                        ; -- End function
	.section	.AMDGPU.csdata,"",@progbits
; Kernel info:
; codeLenInByte = 1704
; NumSgprs: 32
; NumVgprs: 48
; NumAgprs: 0
; TotalNumVgprs: 48
; ScratchSize: 0
; MemoryBound: 0
; FloatMode: 240
; IeeeMode: 1
; LDSByteSize: 0 bytes/workgroup (compile time only)
; SGPRBlocks: 3
; VGPRBlocks: 5
; NumSGPRsForWavesPerEU: 32
; NumVGPRsForWavesPerEU: 48
; AccumOffset: 48
; Occupancy: 8
; WaveLimiterHint : 0
; COMPUTE_PGM_RSRC2:SCRATCH_EN: 0
; COMPUTE_PGM_RSRC2:USER_SGPR: 6
; COMPUTE_PGM_RSRC2:TRAP_HANDLER: 0
; COMPUTE_PGM_RSRC2:TGID_X_EN: 1
; COMPUTE_PGM_RSRC2:TGID_Y_EN: 0
; COMPUTE_PGM_RSRC2:TGID_Z_EN: 0
; COMPUTE_PGM_RSRC2:TIDIG_COMP_CNT: 0
; COMPUTE_PGM_RSRC3_GFX90A:ACCUM_OFFSET: 11
; COMPUTE_PGM_RSRC3_GFX90A:TG_SPLIT: 0
	.section	.text._ZN12_GLOBAL__N_137randperm_handle_duplicate_keys_kernelIiN2at6native12_GLOBAL__N_110OpaqueTypeILi4EEEEEvPT_PT0_S6_iNS1_15PhiloxCudaStateE,"axG",@progbits,_ZN12_GLOBAL__N_137randperm_handle_duplicate_keys_kernelIiN2at6native12_GLOBAL__N_110OpaqueTypeILi4EEEEEvPT_PT0_S6_iNS1_15PhiloxCudaStateE,comdat
	.globl	_ZN12_GLOBAL__N_137randperm_handle_duplicate_keys_kernelIiN2at6native12_GLOBAL__N_110OpaqueTypeILi4EEEEEvPT_PT0_S6_iNS1_15PhiloxCudaStateE ; -- Begin function _ZN12_GLOBAL__N_137randperm_handle_duplicate_keys_kernelIiN2at6native12_GLOBAL__N_110OpaqueTypeILi4EEEEEvPT_PT0_S6_iNS1_15PhiloxCudaStateE
	.p2align	8
	.type	_ZN12_GLOBAL__N_137randperm_handle_duplicate_keys_kernelIiN2at6native12_GLOBAL__N_110OpaqueTypeILi4EEEEEvPT_PT0_S6_iNS1_15PhiloxCudaStateE,@function
_ZN12_GLOBAL__N_137randperm_handle_duplicate_keys_kernelIiN2at6native12_GLOBAL__N_110OpaqueTypeILi4EEEEEvPT_PT0_S6_iNS1_15PhiloxCudaStateE: ; @_ZN12_GLOBAL__N_137randperm_handle_duplicate_keys_kernelIiN2at6native12_GLOBAL__N_110OpaqueTypeILi4EEEEEvPT_PT0_S6_iNS1_15PhiloxCudaStateE
; %bb.0:
	s_load_dword s0, s[4:5], 0x44
	s_load_dwordx2 s[12:13], s[4:5], 0x10
	s_waitcnt lgkmcnt(0)
	s_and_b32 s0, s0, 0xffff
	s_mul_i32 s6, s6, s0
	v_add_u32_e32 v0, s6, v0
	s_add_i32 s0, s13, -1
	v_cmp_gt_i32_e32 vcc, s0, v0
	s_and_saveexec_b64 s[0:1], vcc
	s_cbranch_execz .LBB1_20
; %bb.1:
	s_load_dwordx4 s[0:3], s[4:5], 0x0
	v_ashrrev_i32_e32 v1, 31, v0
	v_lshlrev_b64 v[8:9], 2, v[0:1]
	s_waitcnt lgkmcnt(0)
	v_mov_b32_e32 v3, s1
	v_add_co_u32_e32 v2, vcc, s0, v8
	v_addc_co_u32_e32 v3, vcc, v3, v9, vcc
	global_load_dwordx2 v[4:5], v[2:3], off
	s_waitcnt vmcnt(0)
	v_and_b32_e32 v6, s12, v4
	v_and_b32_e32 v5, s12, v5
	v_cmp_eq_u32_e32 vcc, v6, v5
	s_and_b64 exec, exec, vcc
	s_cbranch_execz .LBB1_20
; %bb.2:
	v_cmp_eq_u32_e64 s[0:1], 0, v0
	v_cmp_ne_u32_e32 vcc, 0, v0
	s_and_saveexec_b64 s[6:7], vcc
	s_cbranch_execz .LBB1_4
; %bb.3:
	global_load_dword v5, v[2:3], off offset:-4
	s_andn2_b64 s[0:1], s[0:1], exec
	s_waitcnt vmcnt(0)
	v_and_b32_e32 v5, s12, v5
	v_cmp_ne_u32_e32 vcc, v6, v5
	s_and_b64 s[8:9], vcc, exec
	s_or_b64 s[0:1], s[0:1], s[8:9]
.LBB1_4:
	s_or_b64 exec, exec, s[6:7]
	s_and_b64 exec, exec, s[0:1]
	s_cbranch_execz .LBB1_20
; %bb.5:
	s_load_dwordx4 s[8:11], s[4:5], 0x18
	s_load_dwordx2 s[0:1], s[4:5], 0x28
	s_load_dword s20, s[4:5], 0x30
	v_add_co_u32_e32 v6, vcc, 4, v2
	v_addc_co_u32_e32 v7, vcc, 0, v3, vcc
	v_mov_b32_e32 v2, s3
	v_add_co_u32_e32 v10, vcc, s2, v8
	v_addc_co_u32_e32 v11, vcc, v2, v9, vcc
	s_mov_b32 s21, 1
	s_mov_b64 s[4:5], 0
                                        ; implicit-def: $sgpr6_sgpr7
                                        ; implicit-def: $sgpr16_sgpr17
                                        ; implicit-def: $sgpr14_sgpr15
	s_branch .LBB1_7
.LBB1_6:                                ;   in Loop: Header=BB1_7 Depth=1
	s_or_b64 exec, exec, s[18:19]
	s_and_b64 s[18:19], exec, s[16:17]
	s_or_b64 s[4:5], s[18:19], s[4:5]
	s_andn2_b64 s[6:7], s[6:7], exec
	s_and_b64 s[18:19], s[14:15], exec
	v_mov_b32_e32 v16, s21
	s_or_b64 s[6:7], s[6:7], s[18:19]
	s_mov_b32 s21, s22
	s_andn2_b64 exec, exec, s[4:5]
	s_cbranch_execz .LBB1_9
.LBB1_7:                                ; =>This Inner Loop Header: Depth=1
	v_add_u32_e32 v5, s21, v0
	v_pk_mov_b32 v[2:3], v[10:11], v[10:11] op_sel:[0,1]
	v_cmp_gt_i32_e32 vcc, s13, v5
	s_or_b64 s[14:15], s[14:15], exec
	s_or_b64 s[16:17], s[16:17], exec
                                        ; implicit-def: $sgpr22
                                        ; implicit-def: $vgpr10_vgpr11
	s_and_saveexec_b64 s[18:19], vcc
	s_cbranch_execz .LBB1_6
; %bb.8:                                ;   in Loop: Header=BB1_7 Depth=1
	global_load_dword v5, v[6:7], off
	v_add_co_u32_e32 v10, vcc, 4, v2
	v_addc_co_u32_e32 v11, vcc, 0, v3, vcc
	v_add_co_u32_e32 v6, vcc, 4, v6
	v_addc_co_u32_e32 v7, vcc, 0, v7, vcc
	s_andn2_b64 s[16:17], s[16:17], exec
	s_add_i32 s22, s21, 1
	s_andn2_b64 s[14:15], s[14:15], exec
	s_waitcnt vmcnt(0)
	v_xor_b32_e32 v5, v5, v4
	v_and_b32_e32 v5, s12, v5
	v_cmp_ne_u32_e32 vcc, 0, v5
	s_and_b64 s[24:25], vcc, exec
	s_or_b64 s[16:17], s[16:17], s[24:25]
	s_branch .LBB1_6
.LBB1_9:
	s_or_b64 exec, exec, s[4:5]
	s_xor_b64 s[4:5], s[6:7], -1
	v_add_u32_e32 v6, -1, v16
	s_and_saveexec_b64 s[6:7], s[4:5]
	s_xor_b64 s[4:5], exec, s[6:7]
; %bb.10:
	v_add_u32_e32 v6, -1, v16
; %bb.11:
	s_andn2_saveexec_b64 s[4:5], s[4:5]
	s_or_b64 exec, exec, s[4:5]
	s_waitcnt lgkmcnt(0)
	s_bitcmp0_b32 s20, 0
	v_pk_mov_b32 v[12:13], s[10:11], s[10:11] op_sel:[0,1]
	v_pk_mov_b32 v[4:5], s[8:9], s[8:9] op_sel:[0,1]
	s_cbranch_scc1 .LBB1_13
; %bb.12:
	v_pk_mov_b32 v[4:5], s[10:11], s[10:11] op_sel:[0,1]
	flat_load_dwordx2 v[10:11], v[4:5]
	v_pk_mov_b32 v[4:5], s[8:9], s[8:9] op_sel:[0,1]
	flat_load_dwordx2 v[4:5], v[4:5]
	v_mov_b32_e32 v7, s1
	s_waitcnt vmcnt(0) lgkmcnt(0)
	v_add_co_u32_e32 v12, vcc, s0, v10
	v_addc_co_u32_e32 v13, vcc, v11, v7, vcc
.LBB1_13:
	v_cmp_ne_u32_e32 vcc, 0, v6
	s_and_b64 exec, exec, vcc
	s_cbranch_execz .LBB1_20
; %bb.14:
	v_mov_b32_e32 v10, s3
	v_add_co_u32_e32 v19, vcc, s2, v8
	s_mov_b32 s0, 0x5384540f
	v_mov_b32_e32 v6, v5
	v_addc_co_u32_e32 v20, vcc, v10, v9, vcc
	v_add_co_u32_e32 v23, vcc, s0, v4
	s_mov_b32 s0, 0x646e171e
	v_add_co_u32_e32 v24, vcc, s0, v6
	s_mov_b32 s0, 0x1715609d
	v_add_co_u32_e32 v25, vcc, s0, v4
	s_mov_b32 s0, 0xed9eba14
	v_add_co_u32_e32 v26, vcc, s0, v6
	s_mov_b32 s0, 0xdaa66d2b
	v_add_co_u32_e32 v27, vcc, s0, v4
	s_mov_b32 s0, 0x76cf5d0a
	v_add_co_u32_e32 v28, vcc, s0, v6
	s_mov_b32 s0, 0x9e3779b9
	v_alignbit_b32 v30, v13, v12, 2
	s_mov_b32 s4, 0xd2511f53
	v_add_co_u32_e32 v29, vcc, s0, v4
	v_xor_b32_e32 v10, v5, v1
	v_mad_u64_u32 v[8:9], s[0:1], v30, s4, 0
	v_xor_b32_e32 v9, v10, v9
	s_mov_b32 s5, 0xcd9e8d57
	v_mad_u64_u32 v[10:11], s[0:1], v9, s5, 0
	v_xor_b32_e32 v9, v29, v11
	v_mad_u64_u32 v[14:15], s[0:1], v0, s5, 0
	v_xor_b32_e32 v9, v9, v14
	v_xor_b32_e32 v11, v15, v4
	v_lshrrev_b32_e32 v31, 2, v13
	v_mad_u64_u32 v[36:37], s[0:1], v9, s4, 0
	v_xor_b32_e32 v11, v11, v31
	v_xor_b32_e32 v9, v28, v37
	v_mad_u64_u32 v[14:15], s[0:1], v11, s4, 0
	v_xor_b32_e32 v9, v9, v14
	v_mad_u64_u32 v[38:39], s[0:1], v9, s5, 0
	s_mov_b32 s0, 0xbb67ae85
	v_add_co_u32_e32 v32, vcc, s0, v6
	v_xor_b32_e32 v9, v32, v15
	v_xor_b32_e32 v8, v9, v8
	v_xor_b32_e32 v11, v27, v39
	v_mad_u64_u32 v[8:9], s[0:1], v8, s5, 0
	v_xor_b32_e32 v8, v11, v8
	v_mad_u64_u32 v[14:15], s[0:1], v8, s4, 0
	s_mov_b32 s0, 0x3c6ef372
	v_add_co_u32_e32 v33, vcc, s0, v4
	v_xor_b32_e32 v8, v33, v9
	;; [unrolled: 8-line block ×6, first 2 shown]
	v_add_co_u32_e32 v22, vcc, 0xdb3d7428, v6
	v_xor_b32_e32 v9, v9, v10
	v_xor_b32_e32 v8, v22, v15
	v_mad_u64_u32 v[10:11], s[0:1], v9, s4, 0
	v_xor_b32_e32 v8, v8, v10
	v_mad_u64_u32 v[8:9], s[0:1], v8, s5, 0
	s_mov_b32 s0, 0x1fd5c5a3
	v_add_co_u32_e32 v38, vcc, s0, v6
	v_xor_b32_e32 v6, v38, v11
	v_xor_b32_e32 v6, v6, v40
	v_mad_u64_u32 v[10:11], s[0:1], v6, s5, 0
	s_mov_b32 s0, 0xf1bbcdc8
	v_add_u32_e32 v17, 0x8ff34781, v4
	v_xor_b32_e32 v6, v9, v10
	v_add_co_u32_e32 v9, vcc, s0, v4
	v_xor_b32_e32 v39, v17, v6
	v_xor_b32_e32 v6, v9, v11
	;; [unrolled: 1-line block ×3, first 2 shown]
	v_mad_u64_u32 v[10:11], s[0:1], v6, s4, 0
	v_add_u32_e32 v18, 0x96a522ad, v5
	v_xor_b32_e32 v6, v11, v14
	v_xor_b32_e32 v40, v18, v6
	v_mov_b32_e32 v7, 0
	v_sub_u32_e32 v21, 0, v16
	v_and_b32_e32 v6, 3, v12
	s_mov_b64 s[0:1], 0
	v_mov_b32_e32 v15, v39
	v_mov_b32_e32 v13, v40
	s_branch .LBB1_16
.LBB1_15:                               ;   in Loop: Header=BB1_16 Depth=1
	s_or_b64 exec, exec, s[2:3]
	v_add_co_u32_e32 v2, vcc, -4, v2
	v_addc_co_u32_e32 v3, vcc, -1, v3, vcc
	v_cmp_gt_i32_e32 vcc, 2, v41
	v_add_u32_e32 v21, 1, v21
	s_or_b64 s[0:1], vcc, s[0:1]
	v_mov_b32_e32 v16, v41
	v_mov_b32_e32 v6, v11
	;; [unrolled: 1-line block ×6, first 2 shown]
	s_andn2_b64 exec, exec, s[0:1]
	s_cbranch_execz .LBB1_20
.LBB1_16:                               ; =>This Inner Loop Header: Depth=1
	v_add_u32_e32 v11, 1, v6
	v_cmp_eq_u32_e32 vcc, 4, v11
	v_mov_b32_e32 v14, v8
	v_mov_b32_e32 v12, v10
	s_and_saveexec_b64 s[2:3], vcc
	s_cbranch_execz .LBB1_18
; %bb.17:                               ;   in Loop: Header=BB1_16 Depth=1
	v_add_co_u32_e32 v30, vcc, 1, v30
	v_cndmask_b32_e64 v12, 0, 1, vcc
	v_addc_co_u32_e32 v31, vcc, 0, v31, vcc
	v_cmp_eq_u32_e32 vcc, 0, v31
	v_cndmask_b32_e32 v12, 0, v12, vcc
	v_add_u32_e32 v0, v12, v0
	v_cmp_eq_u32_e32 vcc, 0, v0
	v_cndmask_b32_e32 v12, 0, v12, vcc
	v_add_u32_e32 v1, v12, v1
	v_mad_u64_u32 v[12:13], s[6:7], v30, s4, 0
	v_mad_u64_u32 v[14:15], s[6:7], v0, s5, 0
	v_xor_b32_e32 v13, v13, v5
	v_xor_b32_e32 v15, v15, v4
	v_xor_b32_e32 v13, v1, v13
	v_xor_b32_e32 v15, v31, v15
	v_mad_u64_u32 v[44:45], s[6:7], v13, s5, 0
	v_mad_u64_u32 v[42:43], s[6:7], v15, s4, 0
	v_xor_b32_e32 v13, v29, v45
	v_xor_b32_e32 v13, v13, v14
	v_xor_b32_e32 v14, v32, v43
	v_xor_b32_e32 v14, v14, v12
	;; [unrolled: 6-line block ×9, first 2 shown]
	v_mad_u64_u32 v[12:13], s[6:7], v12, s4, 0
	v_mad_u64_u32 v[14:15], s[6:7], v14, s5, 0
	v_xor_b32_e32 v15, v15, v48
	v_xor_b32_e32 v13, v13, v46
	v_mov_b32_e32 v11, 0
	v_xor_b32_e32 v15, v17, v15
	v_xor_b32_e32 v13, v18, v13
.LBB1_18:                               ;   in Loop: Header=BB1_16 Depth=1
	s_or_b64 exec, exec, s[2:3]
	v_cvt_f32_u32_e32 v41, v16
	v_cmp_eq_u32_e32 vcc, 1, v6
	v_cndmask_b32_e32 v8, v39, v8, vcc
	v_cmp_eq_u32_e32 vcc, 2, v6
	v_rcp_iflag_f32_e32 v42, v41
	v_cndmask_b32_e32 v8, v8, v40, vcc
	v_cmp_eq_u32_e32 vcc, 3, v6
	v_cndmask_b32_e32 v6, v8, v10, vcc
	v_mul_f32_e32 v39, 0x4f7ffffe, v42
	v_cvt_u32_f32_e32 v39, v39
	v_add_u32_e32 v41, -1, v16
	v_mul_lo_u32 v8, v21, v39
	v_mul_hi_u32 v8, v39, v8
	v_add_u32_e32 v8, v39, v8
	v_mul_hi_u32 v8, v6, v8
	v_mul_lo_u32 v8, v8, v16
	v_sub_u32_e32 v6, v6, v8
	v_sub_u32_e32 v8, v6, v16
	v_cmp_ge_u32_e32 vcc, v6, v16
	v_cndmask_b32_e32 v6, v6, v8, vcc
	v_add_u32_e32 v8, v6, v21
	v_cmp_ge_u32_e32 vcc, v6, v16
	v_cndmask_b32_e32 v6, v6, v8, vcc
	v_cmp_ne_u32_e32 vcc, v41, v6
	s_and_saveexec_b64 s[2:3], vcc
	s_cbranch_execz .LBB1_15
; %bb.19:                               ;   in Loop: Header=BB1_16 Depth=1
	v_lshlrev_b64 v[42:43], 2, v[6:7]
	v_add_co_u32_e32 v42, vcc, v19, v42
	v_addc_co_u32_e32 v43, vcc, v20, v43, vcc
	global_load_dword v6, v[42:43], off
	global_load_dword v8, v[2:3], off
	s_waitcnt vmcnt(1)
	global_store_dword v[2:3], v6, off
	s_waitcnt vmcnt(1)
	global_store_dword v[42:43], v8, off
	s_branch .LBB1_15
.LBB1_20:
	s_endpgm
	.section	.rodata,"a",@progbits
	.p2align	6, 0x0
	.amdhsa_kernel _ZN12_GLOBAL__N_137randperm_handle_duplicate_keys_kernelIiN2at6native12_GLOBAL__N_110OpaqueTypeILi4EEEEEvPT_PT0_S6_iNS1_15PhiloxCudaStateE
		.amdhsa_group_segment_fixed_size 0
		.amdhsa_private_segment_fixed_size 0
		.amdhsa_kernarg_size 312
		.amdhsa_user_sgpr_count 6
		.amdhsa_user_sgpr_private_segment_buffer 1
		.amdhsa_user_sgpr_dispatch_ptr 0
		.amdhsa_user_sgpr_queue_ptr 0
		.amdhsa_user_sgpr_kernarg_segment_ptr 1
		.amdhsa_user_sgpr_dispatch_id 0
		.amdhsa_user_sgpr_flat_scratch_init 0
		.amdhsa_user_sgpr_kernarg_preload_length 0
		.amdhsa_user_sgpr_kernarg_preload_offset 0
		.amdhsa_user_sgpr_private_segment_size 0
		.amdhsa_uses_dynamic_stack 0
		.amdhsa_system_sgpr_private_segment_wavefront_offset 0
		.amdhsa_system_sgpr_workgroup_id_x 1
		.amdhsa_system_sgpr_workgroup_id_y 0
		.amdhsa_system_sgpr_workgroup_id_z 0
		.amdhsa_system_sgpr_workgroup_info 0
		.amdhsa_system_vgpr_workitem_id 0
		.amdhsa_next_free_vgpr 50
		.amdhsa_next_free_sgpr 26
		.amdhsa_accum_offset 52
		.amdhsa_reserve_vcc 1
		.amdhsa_reserve_flat_scratch 0
		.amdhsa_float_round_mode_32 0
		.amdhsa_float_round_mode_16_64 0
		.amdhsa_float_denorm_mode_32 3
		.amdhsa_float_denorm_mode_16_64 3
		.amdhsa_dx10_clamp 1
		.amdhsa_ieee_mode 1
		.amdhsa_fp16_overflow 0
		.amdhsa_tg_split 0
		.amdhsa_exception_fp_ieee_invalid_op 0
		.amdhsa_exception_fp_denorm_src 0
		.amdhsa_exception_fp_ieee_div_zero 0
		.amdhsa_exception_fp_ieee_overflow 0
		.amdhsa_exception_fp_ieee_underflow 0
		.amdhsa_exception_fp_ieee_inexact 0
		.amdhsa_exception_int_div_zero 0
	.end_amdhsa_kernel
	.section	.text._ZN12_GLOBAL__N_137randperm_handle_duplicate_keys_kernelIiN2at6native12_GLOBAL__N_110OpaqueTypeILi4EEEEEvPT_PT0_S6_iNS1_15PhiloxCudaStateE,"axG",@progbits,_ZN12_GLOBAL__N_137randperm_handle_duplicate_keys_kernelIiN2at6native12_GLOBAL__N_110OpaqueTypeILi4EEEEEvPT_PT0_S6_iNS1_15PhiloxCudaStateE,comdat
.Lfunc_end1:
	.size	_ZN12_GLOBAL__N_137randperm_handle_duplicate_keys_kernelIiN2at6native12_GLOBAL__N_110OpaqueTypeILi4EEEEEvPT_PT0_S6_iNS1_15PhiloxCudaStateE, .Lfunc_end1-_ZN12_GLOBAL__N_137randperm_handle_duplicate_keys_kernelIiN2at6native12_GLOBAL__N_110OpaqueTypeILi4EEEEEvPT_PT0_S6_iNS1_15PhiloxCudaStateE
                                        ; -- End function
	.section	.AMDGPU.csdata,"",@progbits
; Kernel info:
; codeLenInByte = 1728
; NumSgprs: 30
; NumVgprs: 50
; NumAgprs: 0
; TotalNumVgprs: 50
; ScratchSize: 0
; MemoryBound: 0
; FloatMode: 240
; IeeeMode: 1
; LDSByteSize: 0 bytes/workgroup (compile time only)
; SGPRBlocks: 3
; VGPRBlocks: 6
; NumSGPRsForWavesPerEU: 30
; NumVGPRsForWavesPerEU: 50
; AccumOffset: 52
; Occupancy: 8
; WaveLimiterHint : 0
; COMPUTE_PGM_RSRC2:SCRATCH_EN: 0
; COMPUTE_PGM_RSRC2:USER_SGPR: 6
; COMPUTE_PGM_RSRC2:TRAP_HANDLER: 0
; COMPUTE_PGM_RSRC2:TGID_X_EN: 1
; COMPUTE_PGM_RSRC2:TGID_Y_EN: 0
; COMPUTE_PGM_RSRC2:TGID_Z_EN: 0
; COMPUTE_PGM_RSRC2:TIDIG_COMP_CNT: 0
; COMPUTE_PGM_RSRC3_GFX90A:ACCUM_OFFSET: 12
; COMPUTE_PGM_RSRC3_GFX90A:TG_SPLIT: 0
	.section	.text._ZN12_GLOBAL__N_137randperm_handle_duplicate_keys_kernelIiN2at6native12_GLOBAL__N_110OpaqueTypeILi8EEEEEvPT_PT0_S6_iNS1_15PhiloxCudaStateE,"axG",@progbits,_ZN12_GLOBAL__N_137randperm_handle_duplicate_keys_kernelIiN2at6native12_GLOBAL__N_110OpaqueTypeILi8EEEEEvPT_PT0_S6_iNS1_15PhiloxCudaStateE,comdat
	.globl	_ZN12_GLOBAL__N_137randperm_handle_duplicate_keys_kernelIiN2at6native12_GLOBAL__N_110OpaqueTypeILi8EEEEEvPT_PT0_S6_iNS1_15PhiloxCudaStateE ; -- Begin function _ZN12_GLOBAL__N_137randperm_handle_duplicate_keys_kernelIiN2at6native12_GLOBAL__N_110OpaqueTypeILi8EEEEEvPT_PT0_S6_iNS1_15PhiloxCudaStateE
	.p2align	8
	.type	_ZN12_GLOBAL__N_137randperm_handle_duplicate_keys_kernelIiN2at6native12_GLOBAL__N_110OpaqueTypeILi8EEEEEvPT_PT0_S6_iNS1_15PhiloxCudaStateE,@function
_ZN12_GLOBAL__N_137randperm_handle_duplicate_keys_kernelIiN2at6native12_GLOBAL__N_110OpaqueTypeILi8EEEEEvPT_PT0_S6_iNS1_15PhiloxCudaStateE: ; @_ZN12_GLOBAL__N_137randperm_handle_duplicate_keys_kernelIiN2at6native12_GLOBAL__N_110OpaqueTypeILi8EEEEEvPT_PT0_S6_iNS1_15PhiloxCudaStateE
; %bb.0:
	s_load_dword s0, s[4:5], 0x44
	s_load_dwordx2 s[12:13], s[4:5], 0x10
	s_waitcnt lgkmcnt(0)
	s_and_b32 s0, s0, 0xffff
	s_mul_i32 s6, s6, s0
	v_add_u32_e32 v0, s6, v0
	s_add_i32 s0, s13, -1
	v_cmp_gt_i32_e32 vcc, s0, v0
	s_and_saveexec_b64 s[0:1], vcc
	s_cbranch_execz .LBB2_20
; %bb.1:
	s_load_dwordx4 s[0:3], s[4:5], 0x0
	v_ashrrev_i32_e32 v1, 31, v0
	v_lshlrev_b64 v[2:3], 2, v[0:1]
	s_waitcnt lgkmcnt(0)
	v_mov_b32_e32 v4, s1
	v_add_co_u32_e32 v2, vcc, s0, v2
	v_addc_co_u32_e32 v3, vcc, v4, v3, vcc
	global_load_dwordx2 v[4:5], v[2:3], off
	s_waitcnt vmcnt(0)
	v_and_b32_e32 v6, s12, v4
	v_and_b32_e32 v5, s12, v5
	v_cmp_eq_u32_e32 vcc, v6, v5
	s_and_b64 exec, exec, vcc
	s_cbranch_execz .LBB2_20
; %bb.2:
	v_cmp_eq_u32_e64 s[0:1], 0, v0
	v_cmp_ne_u32_e32 vcc, 0, v0
	s_and_saveexec_b64 s[6:7], vcc
	s_cbranch_execz .LBB2_4
; %bb.3:
	global_load_dword v5, v[2:3], off offset:-4
	s_andn2_b64 s[0:1], s[0:1], exec
	s_waitcnt vmcnt(0)
	v_and_b32_e32 v5, s12, v5
	v_cmp_ne_u32_e32 vcc, v6, v5
	s_and_b64 s[8:9], vcc, exec
	s_or_b64 s[0:1], s[0:1], s[8:9]
.LBB2_4:
	s_or_b64 exec, exec, s[6:7]
	s_and_b64 exec, exec, s[0:1]
	s_cbranch_execz .LBB2_20
; %bb.5:
	s_load_dwordx4 s[8:11], s[4:5], 0x18
	s_load_dwordx2 s[0:1], s[4:5], 0x28
	s_load_dword s20, s[4:5], 0x30
	v_add_co_u32_e32 v6, vcc, 4, v2
	v_addc_co_u32_e32 v7, vcc, 0, v3, vcc
	v_lshlrev_b64 v[8:9], 3, v[0:1]
	v_mov_b32_e32 v2, s3
	v_add_co_u32_e32 v10, vcc, s2, v8
	v_addc_co_u32_e32 v11, vcc, v2, v9, vcc
	s_mov_b32 s21, 1
	s_mov_b64 s[4:5], 0
                                        ; implicit-def: $sgpr6_sgpr7
                                        ; implicit-def: $sgpr16_sgpr17
                                        ; implicit-def: $sgpr14_sgpr15
	s_branch .LBB2_7
.LBB2_6:                                ;   in Loop: Header=BB2_7 Depth=1
	s_or_b64 exec, exec, s[18:19]
	s_and_b64 s[18:19], exec, s[16:17]
	s_or_b64 s[4:5], s[18:19], s[4:5]
	s_andn2_b64 s[6:7], s[6:7], exec
	s_and_b64 s[18:19], s[14:15], exec
	v_mov_b32_e32 v16, s21
	s_or_b64 s[6:7], s[6:7], s[18:19]
	s_mov_b32 s21, s22
	s_andn2_b64 exec, exec, s[4:5]
	s_cbranch_execz .LBB2_9
.LBB2_7:                                ; =>This Inner Loop Header: Depth=1
	v_add_u32_e32 v5, s21, v0
	v_pk_mov_b32 v[2:3], v[10:11], v[10:11] op_sel:[0,1]
	v_cmp_gt_i32_e32 vcc, s13, v5
	s_or_b64 s[14:15], s[14:15], exec
	s_or_b64 s[16:17], s[16:17], exec
                                        ; implicit-def: $sgpr22
                                        ; implicit-def: $vgpr10_vgpr11
	s_and_saveexec_b64 s[18:19], vcc
	s_cbranch_execz .LBB2_6
; %bb.8:                                ;   in Loop: Header=BB2_7 Depth=1
	global_load_dword v5, v[6:7], off
	v_add_co_u32_e32 v10, vcc, 8, v2
	v_addc_co_u32_e32 v11, vcc, 0, v3, vcc
	v_add_co_u32_e32 v6, vcc, 4, v6
	v_addc_co_u32_e32 v7, vcc, 0, v7, vcc
	s_andn2_b64 s[16:17], s[16:17], exec
	s_add_i32 s22, s21, 1
	s_andn2_b64 s[14:15], s[14:15], exec
	s_waitcnt vmcnt(0)
	v_xor_b32_e32 v5, v5, v4
	v_and_b32_e32 v5, s12, v5
	v_cmp_ne_u32_e32 vcc, 0, v5
	s_and_b64 s[24:25], vcc, exec
	s_or_b64 s[16:17], s[16:17], s[24:25]
	s_branch .LBB2_6
.LBB2_9:
	s_or_b64 exec, exec, s[4:5]
	s_xor_b64 s[4:5], s[6:7], -1
	v_add_u32_e32 v6, -1, v16
	s_and_saveexec_b64 s[6:7], s[4:5]
	s_xor_b64 s[4:5], exec, s[6:7]
; %bb.10:
	v_add_u32_e32 v6, -1, v16
; %bb.11:
	s_andn2_saveexec_b64 s[4:5], s[4:5]
	s_or_b64 exec, exec, s[4:5]
	s_waitcnt lgkmcnt(0)
	s_bitcmp0_b32 s20, 0
	v_pk_mov_b32 v[12:13], s[10:11], s[10:11] op_sel:[0,1]
	v_pk_mov_b32 v[4:5], s[8:9], s[8:9] op_sel:[0,1]
	s_cbranch_scc1 .LBB2_13
; %bb.12:
	v_pk_mov_b32 v[4:5], s[10:11], s[10:11] op_sel:[0,1]
	flat_load_dwordx2 v[10:11], v[4:5]
	v_pk_mov_b32 v[4:5], s[8:9], s[8:9] op_sel:[0,1]
	flat_load_dwordx2 v[4:5], v[4:5]
	v_mov_b32_e32 v7, s1
	s_waitcnt vmcnt(0) lgkmcnt(0)
	v_add_co_u32_e32 v12, vcc, s0, v10
	v_addc_co_u32_e32 v13, vcc, v11, v7, vcc
.LBB2_13:
	v_cmp_ne_u32_e32 vcc, 0, v6
	s_and_b64 exec, exec, vcc
	s_cbranch_execz .LBB2_20
; %bb.14:
	v_mov_b32_e32 v10, s3
	v_add_co_u32_e32 v19, vcc, s2, v8
	s_mov_b32 s0, 0x5384540f
	v_mov_b32_e32 v6, v5
	v_addc_co_u32_e32 v20, vcc, v10, v9, vcc
	v_add_co_u32_e32 v23, vcc, s0, v4
	s_mov_b32 s0, 0x646e171e
	v_add_co_u32_e32 v24, vcc, s0, v6
	s_mov_b32 s0, 0x1715609d
	;; [unrolled: 2-line block ×6, first 2 shown]
	v_alignbit_b32 v30, v13, v12, 2
	s_mov_b32 s4, 0xd2511f53
	v_add_co_u32_e32 v29, vcc, s0, v4
	v_xor_b32_e32 v10, v5, v1
	v_mad_u64_u32 v[8:9], s[0:1], v30, s4, 0
	v_xor_b32_e32 v9, v10, v9
	s_mov_b32 s5, 0xcd9e8d57
	v_mad_u64_u32 v[10:11], s[0:1], v9, s5, 0
	v_xor_b32_e32 v9, v29, v11
	v_mad_u64_u32 v[14:15], s[0:1], v0, s5, 0
	v_xor_b32_e32 v9, v9, v14
	v_xor_b32_e32 v11, v15, v4
	v_lshrrev_b32_e32 v31, 2, v13
	v_mad_u64_u32 v[36:37], s[0:1], v9, s4, 0
	v_xor_b32_e32 v11, v11, v31
	v_xor_b32_e32 v9, v28, v37
	v_mad_u64_u32 v[14:15], s[0:1], v11, s4, 0
	v_xor_b32_e32 v9, v9, v14
	v_mad_u64_u32 v[38:39], s[0:1], v9, s5, 0
	s_mov_b32 s0, 0xbb67ae85
	v_add_co_u32_e32 v32, vcc, s0, v6
	v_xor_b32_e32 v9, v32, v15
	v_xor_b32_e32 v8, v9, v8
	v_xor_b32_e32 v11, v27, v39
	v_mad_u64_u32 v[8:9], s[0:1], v8, s5, 0
	v_xor_b32_e32 v8, v11, v8
	v_mad_u64_u32 v[14:15], s[0:1], v8, s4, 0
	s_mov_b32 s0, 0x3c6ef372
	v_add_co_u32_e32 v33, vcc, s0, v4
	v_xor_b32_e32 v8, v33, v9
	;; [unrolled: 8-line block ×6, first 2 shown]
	v_add_co_u32_e32 v22, vcc, 0xdb3d7428, v6
	v_xor_b32_e32 v9, v9, v10
	v_xor_b32_e32 v8, v22, v15
	v_mad_u64_u32 v[10:11], s[0:1], v9, s4, 0
	v_xor_b32_e32 v8, v8, v10
	v_mad_u64_u32 v[8:9], s[0:1], v8, s5, 0
	s_mov_b32 s0, 0x1fd5c5a3
	v_add_co_u32_e32 v38, vcc, s0, v6
	v_xor_b32_e32 v6, v38, v11
	v_xor_b32_e32 v6, v6, v40
	v_mad_u64_u32 v[10:11], s[0:1], v6, s5, 0
	s_mov_b32 s0, 0xf1bbcdc8
	v_add_u32_e32 v17, 0x8ff34781, v4
	v_xor_b32_e32 v6, v9, v10
	v_add_co_u32_e32 v9, vcc, s0, v4
	v_xor_b32_e32 v39, v17, v6
	v_xor_b32_e32 v6, v9, v11
	;; [unrolled: 1-line block ×3, first 2 shown]
	v_mad_u64_u32 v[10:11], s[0:1], v6, s4, 0
	v_add_u32_e32 v18, 0x96a522ad, v5
	v_xor_b32_e32 v6, v11, v14
	v_xor_b32_e32 v40, v18, v6
	v_mov_b32_e32 v7, 0
	v_sub_u32_e32 v21, 0, v16
	v_and_b32_e32 v6, 3, v12
	s_mov_b64 s[0:1], 0
	v_mov_b32_e32 v15, v39
	v_mov_b32_e32 v13, v40
	s_branch .LBB2_16
.LBB2_15:                               ;   in Loop: Header=BB2_16 Depth=1
	s_or_b64 exec, exec, s[2:3]
	v_add_co_u32_e32 v2, vcc, -8, v2
	v_addc_co_u32_e32 v3, vcc, -1, v3, vcc
	v_cmp_gt_i32_e32 vcc, 2, v41
	v_add_u32_e32 v21, 1, v21
	s_or_b64 s[0:1], vcc, s[0:1]
	v_mov_b32_e32 v16, v41
	v_mov_b32_e32 v6, v11
	;; [unrolled: 1-line block ×6, first 2 shown]
	s_andn2_b64 exec, exec, s[0:1]
	s_cbranch_execz .LBB2_20
.LBB2_16:                               ; =>This Inner Loop Header: Depth=1
	v_add_u32_e32 v11, 1, v6
	v_cmp_eq_u32_e32 vcc, 4, v11
	v_mov_b32_e32 v14, v8
	v_mov_b32_e32 v12, v10
	s_and_saveexec_b64 s[2:3], vcc
	s_cbranch_execz .LBB2_18
; %bb.17:                               ;   in Loop: Header=BB2_16 Depth=1
	v_add_co_u32_e32 v30, vcc, 1, v30
	v_cndmask_b32_e64 v12, 0, 1, vcc
	v_addc_co_u32_e32 v31, vcc, 0, v31, vcc
	v_cmp_eq_u32_e32 vcc, 0, v31
	v_cndmask_b32_e32 v12, 0, v12, vcc
	v_add_u32_e32 v0, v12, v0
	v_cmp_eq_u32_e32 vcc, 0, v0
	v_cndmask_b32_e32 v12, 0, v12, vcc
	v_add_u32_e32 v1, v12, v1
	v_mad_u64_u32 v[12:13], s[6:7], v30, s4, 0
	v_mad_u64_u32 v[14:15], s[6:7], v0, s5, 0
	v_xor_b32_e32 v13, v13, v5
	v_xor_b32_e32 v15, v15, v4
	v_xor_b32_e32 v13, v1, v13
	v_xor_b32_e32 v15, v31, v15
	v_mad_u64_u32 v[44:45], s[6:7], v13, s5, 0
	v_mad_u64_u32 v[42:43], s[6:7], v15, s4, 0
	v_xor_b32_e32 v13, v29, v45
	v_xor_b32_e32 v13, v13, v14
	v_xor_b32_e32 v14, v32, v43
	v_xor_b32_e32 v14, v14, v12
	;; [unrolled: 6-line block ×9, first 2 shown]
	v_mad_u64_u32 v[12:13], s[6:7], v12, s4, 0
	v_mad_u64_u32 v[14:15], s[6:7], v14, s5, 0
	v_xor_b32_e32 v15, v15, v48
	v_xor_b32_e32 v13, v13, v46
	v_mov_b32_e32 v11, 0
	v_xor_b32_e32 v15, v17, v15
	v_xor_b32_e32 v13, v18, v13
.LBB2_18:                               ;   in Loop: Header=BB2_16 Depth=1
	s_or_b64 exec, exec, s[2:3]
	v_cvt_f32_u32_e32 v41, v16
	v_cmp_eq_u32_e32 vcc, 1, v6
	v_cndmask_b32_e32 v8, v39, v8, vcc
	v_cmp_eq_u32_e32 vcc, 2, v6
	v_rcp_iflag_f32_e32 v42, v41
	v_cndmask_b32_e32 v8, v8, v40, vcc
	v_cmp_eq_u32_e32 vcc, 3, v6
	v_cndmask_b32_e32 v6, v8, v10, vcc
	v_mul_f32_e32 v39, 0x4f7ffffe, v42
	v_cvt_u32_f32_e32 v39, v39
	v_add_u32_e32 v41, -1, v16
	v_mul_lo_u32 v8, v21, v39
	v_mul_hi_u32 v8, v39, v8
	v_add_u32_e32 v8, v39, v8
	v_mul_hi_u32 v8, v6, v8
	v_mul_lo_u32 v8, v8, v16
	v_sub_u32_e32 v6, v6, v8
	v_sub_u32_e32 v8, v6, v16
	v_cmp_ge_u32_e32 vcc, v6, v16
	v_cndmask_b32_e32 v6, v6, v8, vcc
	v_add_u32_e32 v8, v6, v21
	v_cmp_ge_u32_e32 vcc, v6, v16
	v_cndmask_b32_e32 v6, v6, v8, vcc
	v_cmp_ne_u32_e32 vcc, v41, v6
	s_and_saveexec_b64 s[2:3], vcc
	s_cbranch_execz .LBB2_15
; %bb.19:                               ;   in Loop: Header=BB2_16 Depth=1
	v_lshlrev_b64 v[42:43], 3, v[6:7]
	v_add_co_u32_e32 v42, vcc, v19, v42
	v_addc_co_u32_e32 v43, vcc, v20, v43, vcc
	global_load_dwordx2 v[44:45], v[42:43], off
	global_load_dwordx2 v[46:47], v[2:3], off
	s_waitcnt vmcnt(1)
	global_store_dwordx2 v[2:3], v[44:45], off
	s_waitcnt vmcnt(1)
	global_store_dwordx2 v[42:43], v[46:47], off
	s_branch .LBB2_15
.LBB2_20:
	s_endpgm
	.section	.rodata,"a",@progbits
	.p2align	6, 0x0
	.amdhsa_kernel _ZN12_GLOBAL__N_137randperm_handle_duplicate_keys_kernelIiN2at6native12_GLOBAL__N_110OpaqueTypeILi8EEEEEvPT_PT0_S6_iNS1_15PhiloxCudaStateE
		.amdhsa_group_segment_fixed_size 0
		.amdhsa_private_segment_fixed_size 0
		.amdhsa_kernarg_size 312
		.amdhsa_user_sgpr_count 6
		.amdhsa_user_sgpr_private_segment_buffer 1
		.amdhsa_user_sgpr_dispatch_ptr 0
		.amdhsa_user_sgpr_queue_ptr 0
		.amdhsa_user_sgpr_kernarg_segment_ptr 1
		.amdhsa_user_sgpr_dispatch_id 0
		.amdhsa_user_sgpr_flat_scratch_init 0
		.amdhsa_user_sgpr_kernarg_preload_length 0
		.amdhsa_user_sgpr_kernarg_preload_offset 0
		.amdhsa_user_sgpr_private_segment_size 0
		.amdhsa_uses_dynamic_stack 0
		.amdhsa_system_sgpr_private_segment_wavefront_offset 0
		.amdhsa_system_sgpr_workgroup_id_x 1
		.amdhsa_system_sgpr_workgroup_id_y 0
		.amdhsa_system_sgpr_workgroup_id_z 0
		.amdhsa_system_sgpr_workgroup_info 0
		.amdhsa_system_vgpr_workitem_id 0
		.amdhsa_next_free_vgpr 50
		.amdhsa_next_free_sgpr 26
		.amdhsa_accum_offset 52
		.amdhsa_reserve_vcc 1
		.amdhsa_reserve_flat_scratch 0
		.amdhsa_float_round_mode_32 0
		.amdhsa_float_round_mode_16_64 0
		.amdhsa_float_denorm_mode_32 3
		.amdhsa_float_denorm_mode_16_64 3
		.amdhsa_dx10_clamp 1
		.amdhsa_ieee_mode 1
		.amdhsa_fp16_overflow 0
		.amdhsa_tg_split 0
		.amdhsa_exception_fp_ieee_invalid_op 0
		.amdhsa_exception_fp_denorm_src 0
		.amdhsa_exception_fp_ieee_div_zero 0
		.amdhsa_exception_fp_ieee_overflow 0
		.amdhsa_exception_fp_ieee_underflow 0
		.amdhsa_exception_fp_ieee_inexact 0
		.amdhsa_exception_int_div_zero 0
	.end_amdhsa_kernel
	.section	.text._ZN12_GLOBAL__N_137randperm_handle_duplicate_keys_kernelIiN2at6native12_GLOBAL__N_110OpaqueTypeILi8EEEEEvPT_PT0_S6_iNS1_15PhiloxCudaStateE,"axG",@progbits,_ZN12_GLOBAL__N_137randperm_handle_duplicate_keys_kernelIiN2at6native12_GLOBAL__N_110OpaqueTypeILi8EEEEEvPT_PT0_S6_iNS1_15PhiloxCudaStateE,comdat
.Lfunc_end2:
	.size	_ZN12_GLOBAL__N_137randperm_handle_duplicate_keys_kernelIiN2at6native12_GLOBAL__N_110OpaqueTypeILi8EEEEEvPT_PT0_S6_iNS1_15PhiloxCudaStateE, .Lfunc_end2-_ZN12_GLOBAL__N_137randperm_handle_duplicate_keys_kernelIiN2at6native12_GLOBAL__N_110OpaqueTypeILi8EEEEEvPT_PT0_S6_iNS1_15PhiloxCudaStateE
                                        ; -- End function
	.section	.AMDGPU.csdata,"",@progbits
; Kernel info:
; codeLenInByte = 1736
; NumSgprs: 30
; NumVgprs: 50
; NumAgprs: 0
; TotalNumVgprs: 50
; ScratchSize: 0
; MemoryBound: 1
; FloatMode: 240
; IeeeMode: 1
; LDSByteSize: 0 bytes/workgroup (compile time only)
; SGPRBlocks: 3
; VGPRBlocks: 6
; NumSGPRsForWavesPerEU: 30
; NumVGPRsForWavesPerEU: 50
; AccumOffset: 52
; Occupancy: 8
; WaveLimiterHint : 0
; COMPUTE_PGM_RSRC2:SCRATCH_EN: 0
; COMPUTE_PGM_RSRC2:USER_SGPR: 6
; COMPUTE_PGM_RSRC2:TRAP_HANDLER: 0
; COMPUTE_PGM_RSRC2:TGID_X_EN: 1
; COMPUTE_PGM_RSRC2:TGID_Y_EN: 0
; COMPUTE_PGM_RSRC2:TGID_Z_EN: 0
; COMPUTE_PGM_RSRC2:TIDIG_COMP_CNT: 0
; COMPUTE_PGM_RSRC3_GFX90A:ACCUM_OFFSET: 12
; COMPUTE_PGM_RSRC3_GFX90A:TG_SPLIT: 0
	.section	.text._ZN12_GLOBAL__N_137randperm_handle_duplicate_keys_kernelIiN2at6native12_GLOBAL__N_110OpaqueTypeILi2EEEEEvPT_PT0_S6_iNS1_15PhiloxCudaStateE,"axG",@progbits,_ZN12_GLOBAL__N_137randperm_handle_duplicate_keys_kernelIiN2at6native12_GLOBAL__N_110OpaqueTypeILi2EEEEEvPT_PT0_S6_iNS1_15PhiloxCudaStateE,comdat
	.globl	_ZN12_GLOBAL__N_137randperm_handle_duplicate_keys_kernelIiN2at6native12_GLOBAL__N_110OpaqueTypeILi2EEEEEvPT_PT0_S6_iNS1_15PhiloxCudaStateE ; -- Begin function _ZN12_GLOBAL__N_137randperm_handle_duplicate_keys_kernelIiN2at6native12_GLOBAL__N_110OpaqueTypeILi2EEEEEvPT_PT0_S6_iNS1_15PhiloxCudaStateE
	.p2align	8
	.type	_ZN12_GLOBAL__N_137randperm_handle_duplicate_keys_kernelIiN2at6native12_GLOBAL__N_110OpaqueTypeILi2EEEEEvPT_PT0_S6_iNS1_15PhiloxCudaStateE,@function
_ZN12_GLOBAL__N_137randperm_handle_duplicate_keys_kernelIiN2at6native12_GLOBAL__N_110OpaqueTypeILi2EEEEEvPT_PT0_S6_iNS1_15PhiloxCudaStateE: ; @_ZN12_GLOBAL__N_137randperm_handle_duplicate_keys_kernelIiN2at6native12_GLOBAL__N_110OpaqueTypeILi2EEEEEvPT_PT0_S6_iNS1_15PhiloxCudaStateE
; %bb.0:
	s_load_dword s0, s[4:5], 0x44
	s_load_dwordx2 s[12:13], s[4:5], 0x10
	s_waitcnt lgkmcnt(0)
	s_and_b32 s0, s0, 0xffff
	s_mul_i32 s6, s6, s0
	v_add_u32_e32 v0, s6, v0
	s_add_i32 s0, s13, -1
	v_cmp_gt_i32_e32 vcc, s0, v0
	s_and_saveexec_b64 s[0:1], vcc
	s_cbranch_execz .LBB3_20
; %bb.1:
	s_load_dwordx4 s[0:3], s[4:5], 0x0
	v_ashrrev_i32_e32 v1, 31, v0
	v_lshlrev_b64 v[2:3], 2, v[0:1]
	s_waitcnt lgkmcnt(0)
	v_mov_b32_e32 v4, s1
	v_add_co_u32_e32 v2, vcc, s0, v2
	v_addc_co_u32_e32 v3, vcc, v4, v3, vcc
	global_load_dwordx2 v[4:5], v[2:3], off
	s_waitcnt vmcnt(0)
	v_and_b32_e32 v6, s12, v4
	v_and_b32_e32 v5, s12, v5
	v_cmp_eq_u32_e32 vcc, v6, v5
	s_and_b64 exec, exec, vcc
	s_cbranch_execz .LBB3_20
; %bb.2:
	v_cmp_eq_u32_e64 s[0:1], 0, v0
	v_cmp_ne_u32_e32 vcc, 0, v0
	s_and_saveexec_b64 s[6:7], vcc
	s_cbranch_execz .LBB3_4
; %bb.3:
	global_load_dword v5, v[2:3], off offset:-4
	s_andn2_b64 s[0:1], s[0:1], exec
	s_waitcnt vmcnt(0)
	v_and_b32_e32 v5, s12, v5
	v_cmp_ne_u32_e32 vcc, v6, v5
	s_and_b64 s[8:9], vcc, exec
	s_or_b64 s[0:1], s[0:1], s[8:9]
.LBB3_4:
	s_or_b64 exec, exec, s[6:7]
	s_and_b64 exec, exec, s[0:1]
	s_cbranch_execz .LBB3_20
; %bb.5:
	s_load_dwordx4 s[8:11], s[4:5], 0x18
	s_load_dwordx2 s[0:1], s[4:5], 0x28
	s_load_dword s20, s[4:5], 0x30
	v_add_co_u32_e32 v6, vcc, 4, v2
	v_addc_co_u32_e32 v7, vcc, 0, v3, vcc
	v_lshlrev_b64 v[8:9], 1, v[0:1]
	v_mov_b32_e32 v2, s3
	v_add_co_u32_e32 v10, vcc, s2, v8
	s_mov_b32 s21, 1
	v_addc_co_u32_e32 v11, vcc, v2, v9, vcc
	s_mov_b64 s[4:5], 0
                                        ; implicit-def: $sgpr6_sgpr7
                                        ; implicit-def: $sgpr16_sgpr17
                                        ; implicit-def: $sgpr14_sgpr15
	s_branch .LBB3_7
.LBB3_6:                                ;   in Loop: Header=BB3_7 Depth=1
	s_or_b64 exec, exec, s[18:19]
	s_and_b64 s[18:19], exec, s[16:17]
	s_or_b64 s[4:5], s[18:19], s[4:5]
	s_andn2_b64 s[6:7], s[6:7], exec
	s_and_b64 s[18:19], s[14:15], exec
	v_mov_b32_e32 v16, s21
	s_or_b64 s[6:7], s[6:7], s[18:19]
	s_mov_b32 s21, s22
	s_andn2_b64 exec, exec, s[4:5]
	s_cbranch_execz .LBB3_9
.LBB3_7:                                ; =>This Inner Loop Header: Depth=1
	v_add_u32_e32 v5, s21, v0
	v_pk_mov_b32 v[2:3], v[10:11], v[10:11] op_sel:[0,1]
	v_cmp_gt_i32_e32 vcc, s13, v5
	s_or_b64 s[14:15], s[14:15], exec
	s_or_b64 s[16:17], s[16:17], exec
                                        ; implicit-def: $sgpr22
                                        ; implicit-def: $vgpr10_vgpr11
	s_and_saveexec_b64 s[18:19], vcc
	s_cbranch_execz .LBB3_6
; %bb.8:                                ;   in Loop: Header=BB3_7 Depth=1
	global_load_dword v5, v[6:7], off
	v_add_co_u32_e32 v10, vcc, 2, v2
	v_addc_co_u32_e32 v11, vcc, 0, v3, vcc
	v_add_co_u32_e32 v6, vcc, 4, v6
	v_addc_co_u32_e32 v7, vcc, 0, v7, vcc
	s_andn2_b64 s[16:17], s[16:17], exec
	s_add_i32 s22, s21, 1
	s_andn2_b64 s[14:15], s[14:15], exec
	s_waitcnt vmcnt(0)
	v_xor_b32_e32 v5, v5, v4
	v_and_b32_e32 v5, s12, v5
	v_cmp_ne_u32_e32 vcc, 0, v5
	s_and_b64 s[24:25], vcc, exec
	s_or_b64 s[16:17], s[16:17], s[24:25]
	s_branch .LBB3_6
.LBB3_9:
	s_or_b64 exec, exec, s[4:5]
	s_xor_b64 s[4:5], s[6:7], -1
	v_add_u32_e32 v6, -1, v16
	s_and_saveexec_b64 s[6:7], s[4:5]
	s_xor_b64 s[4:5], exec, s[6:7]
; %bb.10:
	v_add_u32_e32 v6, -1, v16
; %bb.11:
	s_andn2_saveexec_b64 s[4:5], s[4:5]
	s_or_b64 exec, exec, s[4:5]
	s_waitcnt lgkmcnt(0)
	s_bitcmp0_b32 s20, 0
	v_pk_mov_b32 v[12:13], s[10:11], s[10:11] op_sel:[0,1]
	v_pk_mov_b32 v[4:5], s[8:9], s[8:9] op_sel:[0,1]
	s_cbranch_scc1 .LBB3_13
; %bb.12:
	v_pk_mov_b32 v[4:5], s[10:11], s[10:11] op_sel:[0,1]
	flat_load_dwordx2 v[10:11], v[4:5]
	v_pk_mov_b32 v[4:5], s[8:9], s[8:9] op_sel:[0,1]
	flat_load_dwordx2 v[4:5], v[4:5]
	v_mov_b32_e32 v7, s1
	s_waitcnt vmcnt(0) lgkmcnt(0)
	v_add_co_u32_e32 v12, vcc, s0, v10
	v_addc_co_u32_e32 v13, vcc, v11, v7, vcc
.LBB3_13:
	v_cmp_ne_u32_e32 vcc, 0, v6
	s_and_b64 exec, exec, vcc
	s_cbranch_execz .LBB3_20
; %bb.14:
	v_mov_b32_e32 v10, s3
	v_add_co_u32_e32 v19, vcc, s2, v8
	s_mov_b32 s0, 0x5384540f
	v_mov_b32_e32 v6, v5
	v_addc_co_u32_e32 v20, vcc, v10, v9, vcc
	v_add_co_u32_e32 v23, vcc, s0, v4
	s_mov_b32 s0, 0x646e171e
	v_add_co_u32_e32 v24, vcc, s0, v6
	s_mov_b32 s0, 0x1715609d
	;; [unrolled: 2-line block ×6, first 2 shown]
	v_alignbit_b32 v30, v13, v12, 2
	s_mov_b32 s4, 0xd2511f53
	v_add_co_u32_e32 v29, vcc, s0, v4
	v_xor_b32_e32 v10, v5, v1
	v_mad_u64_u32 v[8:9], s[0:1], v30, s4, 0
	v_xor_b32_e32 v9, v10, v9
	s_mov_b32 s5, 0xcd9e8d57
	v_mad_u64_u32 v[10:11], s[0:1], v9, s5, 0
	v_xor_b32_e32 v9, v29, v11
	v_mad_u64_u32 v[14:15], s[0:1], v0, s5, 0
	v_xor_b32_e32 v9, v9, v14
	v_xor_b32_e32 v11, v15, v4
	v_lshrrev_b32_e32 v31, 2, v13
	v_mad_u64_u32 v[36:37], s[0:1], v9, s4, 0
	v_xor_b32_e32 v11, v11, v31
	v_xor_b32_e32 v9, v28, v37
	v_mad_u64_u32 v[14:15], s[0:1], v11, s4, 0
	v_xor_b32_e32 v9, v9, v14
	v_mad_u64_u32 v[38:39], s[0:1], v9, s5, 0
	s_mov_b32 s0, 0xbb67ae85
	v_add_co_u32_e32 v32, vcc, s0, v6
	v_xor_b32_e32 v9, v32, v15
	v_xor_b32_e32 v8, v9, v8
	v_xor_b32_e32 v11, v27, v39
	v_mad_u64_u32 v[8:9], s[0:1], v8, s5, 0
	v_xor_b32_e32 v8, v11, v8
	v_mad_u64_u32 v[14:15], s[0:1], v8, s4, 0
	s_mov_b32 s0, 0x3c6ef372
	v_add_co_u32_e32 v33, vcc, s0, v4
	v_xor_b32_e32 v8, v33, v9
	;; [unrolled: 8-line block ×6, first 2 shown]
	v_add_co_u32_e32 v22, vcc, 0xdb3d7428, v6
	v_xor_b32_e32 v9, v9, v10
	v_xor_b32_e32 v8, v22, v15
	v_mad_u64_u32 v[10:11], s[0:1], v9, s4, 0
	v_xor_b32_e32 v8, v8, v10
	v_mad_u64_u32 v[8:9], s[0:1], v8, s5, 0
	s_mov_b32 s0, 0x1fd5c5a3
	v_add_co_u32_e32 v38, vcc, s0, v6
	v_xor_b32_e32 v6, v38, v11
	v_xor_b32_e32 v6, v6, v40
	v_mad_u64_u32 v[10:11], s[0:1], v6, s5, 0
	s_mov_b32 s0, 0xf1bbcdc8
	v_add_u32_e32 v17, 0x8ff34781, v4
	v_xor_b32_e32 v6, v9, v10
	v_add_co_u32_e32 v9, vcc, s0, v4
	v_xor_b32_e32 v39, v17, v6
	v_xor_b32_e32 v6, v9, v11
	;; [unrolled: 1-line block ×3, first 2 shown]
	v_mad_u64_u32 v[10:11], s[0:1], v6, s4, 0
	v_add_u32_e32 v18, 0x96a522ad, v5
	v_xor_b32_e32 v6, v11, v14
	v_xor_b32_e32 v40, v18, v6
	v_mov_b32_e32 v7, 0
	v_sub_u32_e32 v21, 0, v16
	v_and_b32_e32 v6, 3, v12
	s_mov_b64 s[0:1], 0
	v_mov_b32_e32 v15, v39
	v_mov_b32_e32 v13, v40
	s_branch .LBB3_16
.LBB3_15:                               ;   in Loop: Header=BB3_16 Depth=1
	s_or_b64 exec, exec, s[2:3]
	v_add_co_u32_e32 v2, vcc, -2, v2
	v_addc_co_u32_e32 v3, vcc, -1, v3, vcc
	v_cmp_gt_i32_e32 vcc, 2, v41
	v_add_u32_e32 v21, 1, v21
	s_or_b64 s[0:1], vcc, s[0:1]
	v_mov_b32_e32 v16, v41
	v_mov_b32_e32 v6, v11
	;; [unrolled: 1-line block ×6, first 2 shown]
	s_andn2_b64 exec, exec, s[0:1]
	s_cbranch_execz .LBB3_20
.LBB3_16:                               ; =>This Inner Loop Header: Depth=1
	v_add_u32_e32 v11, 1, v6
	v_cmp_eq_u32_e32 vcc, 4, v11
	v_mov_b32_e32 v14, v8
	v_mov_b32_e32 v12, v10
	s_and_saveexec_b64 s[2:3], vcc
	s_cbranch_execz .LBB3_18
; %bb.17:                               ;   in Loop: Header=BB3_16 Depth=1
	v_add_co_u32_e32 v30, vcc, 1, v30
	v_cndmask_b32_e64 v12, 0, 1, vcc
	v_addc_co_u32_e32 v31, vcc, 0, v31, vcc
	v_cmp_eq_u32_e32 vcc, 0, v31
	v_cndmask_b32_e32 v12, 0, v12, vcc
	v_add_u32_e32 v0, v12, v0
	v_cmp_eq_u32_e32 vcc, 0, v0
	v_cndmask_b32_e32 v12, 0, v12, vcc
	v_add_u32_e32 v1, v12, v1
	v_mad_u64_u32 v[12:13], s[6:7], v30, s4, 0
	v_mad_u64_u32 v[14:15], s[6:7], v0, s5, 0
	v_xor_b32_e32 v13, v13, v5
	v_xor_b32_e32 v15, v15, v4
	v_xor_b32_e32 v13, v1, v13
	v_xor_b32_e32 v15, v31, v15
	v_mad_u64_u32 v[44:45], s[6:7], v13, s5, 0
	v_mad_u64_u32 v[42:43], s[6:7], v15, s4, 0
	v_xor_b32_e32 v13, v29, v45
	v_xor_b32_e32 v13, v13, v14
	v_xor_b32_e32 v14, v32, v43
	v_xor_b32_e32 v14, v14, v12
	;; [unrolled: 6-line block ×9, first 2 shown]
	v_mad_u64_u32 v[12:13], s[6:7], v12, s4, 0
	v_mad_u64_u32 v[14:15], s[6:7], v14, s5, 0
	v_xor_b32_e32 v15, v15, v48
	v_xor_b32_e32 v13, v13, v46
	v_mov_b32_e32 v11, 0
	v_xor_b32_e32 v15, v17, v15
	v_xor_b32_e32 v13, v18, v13
.LBB3_18:                               ;   in Loop: Header=BB3_16 Depth=1
	s_or_b64 exec, exec, s[2:3]
	v_cvt_f32_u32_e32 v41, v16
	v_cmp_eq_u32_e32 vcc, 1, v6
	v_cndmask_b32_e32 v8, v39, v8, vcc
	v_cmp_eq_u32_e32 vcc, 2, v6
	v_rcp_iflag_f32_e32 v42, v41
	v_cndmask_b32_e32 v8, v8, v40, vcc
	v_cmp_eq_u32_e32 vcc, 3, v6
	v_cndmask_b32_e32 v6, v8, v10, vcc
	v_mul_f32_e32 v39, 0x4f7ffffe, v42
	v_cvt_u32_f32_e32 v39, v39
	v_add_u32_e32 v41, -1, v16
	v_mul_lo_u32 v8, v21, v39
	v_mul_hi_u32 v8, v39, v8
	v_add_u32_e32 v8, v39, v8
	v_mul_hi_u32 v8, v6, v8
	v_mul_lo_u32 v8, v8, v16
	v_sub_u32_e32 v6, v6, v8
	v_sub_u32_e32 v8, v6, v16
	v_cmp_ge_u32_e32 vcc, v6, v16
	v_cndmask_b32_e32 v6, v6, v8, vcc
	v_add_u32_e32 v8, v6, v21
	v_cmp_ge_u32_e32 vcc, v6, v16
	v_cndmask_b32_e32 v6, v6, v8, vcc
	v_cmp_ne_u32_e32 vcc, v41, v6
	s_and_saveexec_b64 s[2:3], vcc
	s_cbranch_execz .LBB3_15
; %bb.19:                               ;   in Loop: Header=BB3_16 Depth=1
	v_lshlrev_b64 v[42:43], 1, v[6:7]
	v_add_co_u32_e32 v42, vcc, v19, v42
	v_addc_co_u32_e32 v43, vcc, v20, v43, vcc
	global_load_ushort v6, v[42:43], off
	global_load_ushort v8, v[2:3], off
	s_waitcnt vmcnt(1)
	global_store_short v[2:3], v6, off
	s_waitcnt vmcnt(1)
	global_store_short v[42:43], v8, off
	s_branch .LBB3_15
.LBB3_20:
	s_endpgm
	.section	.rodata,"a",@progbits
	.p2align	6, 0x0
	.amdhsa_kernel _ZN12_GLOBAL__N_137randperm_handle_duplicate_keys_kernelIiN2at6native12_GLOBAL__N_110OpaqueTypeILi2EEEEEvPT_PT0_S6_iNS1_15PhiloxCudaStateE
		.amdhsa_group_segment_fixed_size 0
		.amdhsa_private_segment_fixed_size 0
		.amdhsa_kernarg_size 312
		.amdhsa_user_sgpr_count 6
		.amdhsa_user_sgpr_private_segment_buffer 1
		.amdhsa_user_sgpr_dispatch_ptr 0
		.amdhsa_user_sgpr_queue_ptr 0
		.amdhsa_user_sgpr_kernarg_segment_ptr 1
		.amdhsa_user_sgpr_dispatch_id 0
		.amdhsa_user_sgpr_flat_scratch_init 0
		.amdhsa_user_sgpr_kernarg_preload_length 0
		.amdhsa_user_sgpr_kernarg_preload_offset 0
		.amdhsa_user_sgpr_private_segment_size 0
		.amdhsa_uses_dynamic_stack 0
		.amdhsa_system_sgpr_private_segment_wavefront_offset 0
		.amdhsa_system_sgpr_workgroup_id_x 1
		.amdhsa_system_sgpr_workgroup_id_y 0
		.amdhsa_system_sgpr_workgroup_id_z 0
		.amdhsa_system_sgpr_workgroup_info 0
		.amdhsa_system_vgpr_workitem_id 0
		.amdhsa_next_free_vgpr 50
		.amdhsa_next_free_sgpr 26
		.amdhsa_accum_offset 52
		.amdhsa_reserve_vcc 1
		.amdhsa_reserve_flat_scratch 0
		.amdhsa_float_round_mode_32 0
		.amdhsa_float_round_mode_16_64 0
		.amdhsa_float_denorm_mode_32 3
		.amdhsa_float_denorm_mode_16_64 3
		.amdhsa_dx10_clamp 1
		.amdhsa_ieee_mode 1
		.amdhsa_fp16_overflow 0
		.amdhsa_tg_split 0
		.amdhsa_exception_fp_ieee_invalid_op 0
		.amdhsa_exception_fp_denorm_src 0
		.amdhsa_exception_fp_ieee_div_zero 0
		.amdhsa_exception_fp_ieee_overflow 0
		.amdhsa_exception_fp_ieee_underflow 0
		.amdhsa_exception_fp_ieee_inexact 0
		.amdhsa_exception_int_div_zero 0
	.end_amdhsa_kernel
	.section	.text._ZN12_GLOBAL__N_137randperm_handle_duplicate_keys_kernelIiN2at6native12_GLOBAL__N_110OpaqueTypeILi2EEEEEvPT_PT0_S6_iNS1_15PhiloxCudaStateE,"axG",@progbits,_ZN12_GLOBAL__N_137randperm_handle_duplicate_keys_kernelIiN2at6native12_GLOBAL__N_110OpaqueTypeILi2EEEEEvPT_PT0_S6_iNS1_15PhiloxCudaStateE,comdat
.Lfunc_end3:
	.size	_ZN12_GLOBAL__N_137randperm_handle_duplicate_keys_kernelIiN2at6native12_GLOBAL__N_110OpaqueTypeILi2EEEEEvPT_PT0_S6_iNS1_15PhiloxCudaStateE, .Lfunc_end3-_ZN12_GLOBAL__N_137randperm_handle_duplicate_keys_kernelIiN2at6native12_GLOBAL__N_110OpaqueTypeILi2EEEEEvPT_PT0_S6_iNS1_15PhiloxCudaStateE
                                        ; -- End function
	.section	.AMDGPU.csdata,"",@progbits
; Kernel info:
; codeLenInByte = 1736
; NumSgprs: 30
; NumVgprs: 50
; NumAgprs: 0
; TotalNumVgprs: 50
; ScratchSize: 0
; MemoryBound: 0
; FloatMode: 240
; IeeeMode: 1
; LDSByteSize: 0 bytes/workgroup (compile time only)
; SGPRBlocks: 3
; VGPRBlocks: 6
; NumSGPRsForWavesPerEU: 30
; NumVGPRsForWavesPerEU: 50
; AccumOffset: 52
; Occupancy: 8
; WaveLimiterHint : 0
; COMPUTE_PGM_RSRC2:SCRATCH_EN: 0
; COMPUTE_PGM_RSRC2:USER_SGPR: 6
; COMPUTE_PGM_RSRC2:TRAP_HANDLER: 0
; COMPUTE_PGM_RSRC2:TGID_X_EN: 1
; COMPUTE_PGM_RSRC2:TGID_Y_EN: 0
; COMPUTE_PGM_RSRC2:TGID_Z_EN: 0
; COMPUTE_PGM_RSRC2:TIDIG_COMP_CNT: 0
; COMPUTE_PGM_RSRC3_GFX90A:ACCUM_OFFSET: 12
; COMPUTE_PGM_RSRC3_GFX90A:TG_SPLIT: 0
	.section	.text._ZN12_GLOBAL__N_137randperm_handle_duplicate_keys_kernelIlN2at6native12_GLOBAL__N_110OpaqueTypeILi1EEEEEvPT_PT0_S6_iNS1_15PhiloxCudaStateE,"axG",@progbits,_ZN12_GLOBAL__N_137randperm_handle_duplicate_keys_kernelIlN2at6native12_GLOBAL__N_110OpaqueTypeILi1EEEEEvPT_PT0_S6_iNS1_15PhiloxCudaStateE,comdat
	.globl	_ZN12_GLOBAL__N_137randperm_handle_duplicate_keys_kernelIlN2at6native12_GLOBAL__N_110OpaqueTypeILi1EEEEEvPT_PT0_S6_iNS1_15PhiloxCudaStateE ; -- Begin function _ZN12_GLOBAL__N_137randperm_handle_duplicate_keys_kernelIlN2at6native12_GLOBAL__N_110OpaqueTypeILi1EEEEEvPT_PT0_S6_iNS1_15PhiloxCudaStateE
	.p2align	8
	.type	_ZN12_GLOBAL__N_137randperm_handle_duplicate_keys_kernelIlN2at6native12_GLOBAL__N_110OpaqueTypeILi1EEEEEvPT_PT0_S6_iNS1_15PhiloxCudaStateE,@function
_ZN12_GLOBAL__N_137randperm_handle_duplicate_keys_kernelIlN2at6native12_GLOBAL__N_110OpaqueTypeILi1EEEEEvPT_PT0_S6_iNS1_15PhiloxCudaStateE: ; @_ZN12_GLOBAL__N_137randperm_handle_duplicate_keys_kernelIlN2at6native12_GLOBAL__N_110OpaqueTypeILi1EEEEEvPT_PT0_S6_iNS1_15PhiloxCudaStateE
; %bb.0:
	s_load_dword s0, s[4:5], 0x4c
	s_load_dword s24, s[4:5], 0x18
	s_waitcnt lgkmcnt(0)
	s_and_b32 s0, s0, 0xffff
	s_mul_i32 s6, s6, s0
	v_add_u32_e32 v4, s6, v0
	s_add_i32 s0, s24, -1
	v_cmp_gt_i32_e32 vcc, s0, v4
	s_and_saveexec_b64 s[0:1], vcc
	s_cbranch_execz .LBB4_18
; %bb.1:
	s_load_dwordx4 s[0:3], s[4:5], 0x0
	s_load_dwordx2 s[6:7], s[4:5], 0x10
	v_ashrrev_i32_e32 v5, 31, v4
	v_lshlrev_b64 v[0:1], 3, v[4:5]
	s_waitcnt lgkmcnt(0)
	v_mov_b32_e32 v2, s1
	v_add_co_u32_e32 v6, vcc, s0, v0
	v_addc_co_u32_e32 v7, vcc, v2, v1, vcc
	global_load_dwordx4 v[0:3], v[6:7], off
	s_waitcnt vmcnt(0)
	v_and_b32_e32 v9, s7, v1
	v_and_b32_e32 v8, s6, v0
	;; [unrolled: 1-line block ×4, first 2 shown]
	v_cmp_eq_u64_e32 vcc, v[8:9], v[2:3]
	s_and_b64 exec, exec, vcc
	s_cbranch_execz .LBB4_18
; %bb.2:
	v_cmp_eq_u32_e64 s[0:1], 0, v4
	v_cmp_ne_u32_e32 vcc, 0, v4
	s_and_saveexec_b64 s[8:9], vcc
	s_cbranch_execz .LBB4_4
; %bb.3:
	global_load_dwordx2 v[2:3], v[6:7], off offset:-8
	s_andn2_b64 s[0:1], s[0:1], exec
	s_waitcnt vmcnt(0)
	v_and_b32_e32 v3, s7, v3
	v_and_b32_e32 v2, s6, v2
	v_cmp_ne_u64_e32 vcc, v[8:9], v[2:3]
	s_and_b64 s[10:11], vcc, exec
	s_or_b64 s[0:1], s[0:1], s[10:11]
.LBB4_4:
	s_or_b64 exec, exec, s[8:9]
	s_and_b64 exec, exec, s[0:1]
	s_cbranch_execz .LBB4_18
; %bb.5:
	s_load_dwordx4 s[8:11], s[4:5], 0x20
	s_load_dwordx2 s[0:1], s[4:5], 0x30
	s_load_dword s25, s[4:5], 0x38
	v_add_co_u32_e32 v6, vcc, 8, v6
	v_addc_co_u32_e32 v7, vcc, 0, v7, vcc
	v_add_u32_e32 v8, 1, v4
	s_mov_b64 s[4:5], 0
	s_mov_b64 s[18:19], 0
                                        ; implicit-def: $sgpr12_sgpr13
                                        ; implicit-def: $sgpr16_sgpr17
                                        ; implicit-def: $sgpr14_sgpr15
	s_branch .LBB4_7
.LBB4_6:                                ;   in Loop: Header=BB4_7 Depth=1
	s_or_b64 exec, exec, s[22:23]
	s_and_b64 s[22:23], exec, s[16:17]
	s_or_b64 s[4:5], s[22:23], s[4:5]
	v_pk_mov_b32 v[2:3], s[18:19], s[18:19] op_sel:[0,1]
	s_andn2_b64 s[12:13], s[12:13], exec
	s_and_b64 s[18:19], s[14:15], exec
	s_or_b64 s[12:13], s[12:13], s[18:19]
	s_mov_b64 s[18:19], s[20:21]
	s_andn2_b64 exec, exec, s[4:5]
	s_cbranch_execz .LBB4_9
.LBB4_7:                                ; =>This Inner Loop Header: Depth=1
	v_add_u32_e32 v2, s18, v8
	v_cmp_gt_i32_e32 vcc, s24, v2
	s_or_b64 s[14:15], s[14:15], exec
	s_or_b64 s[16:17], s[16:17], exec
                                        ; implicit-def: $sgpr20_sgpr21
	s_and_saveexec_b64 s[22:23], vcc
	s_cbranch_execz .LBB4_6
; %bb.8:                                ;   in Loop: Header=BB4_7 Depth=1
	global_load_dwordx2 v[2:3], v[6:7], off
	v_add_co_u32_e32 v6, vcc, 8, v6
	v_addc_co_u32_e32 v7, vcc, 0, v7, vcc
	s_add_u32 s20, s18, 1
	s_addc_u32 s21, s19, 0
	s_andn2_b64 s[16:17], s[16:17], exec
	s_andn2_b64 s[14:15], s[14:15], exec
	s_waitcnt vmcnt(0)
	v_xor_b32_e32 v3, v3, v1
	v_xor_b32_e32 v2, v2, v0
	v_and_b32_e32 v3, s7, v3
	v_and_b32_e32 v2, s6, v2
	v_cmp_ne_u64_e32 vcc, 0, v[2:3]
	s_and_b64 s[26:27], vcc, exec
	s_or_b64 s[16:17], s[16:17], s[26:27]
	s_branch .LBB4_6
.LBB4_9:
	s_or_b64 exec, exec, s[4:5]
	s_xor_b64 s[4:5], s[12:13], -1
	s_and_saveexec_b64 s[6:7], s[4:5]
	s_xor_b64 s[4:5], exec, s[6:7]
	s_andn2_saveexec_b64 s[4:5], s[4:5]
	s_or_b64 exec, exec, s[4:5]
	s_waitcnt lgkmcnt(0)
	s_bitcmp0_b32 s25, 0
	v_pk_mov_b32 v[10:11], s[10:11], s[10:11] op_sel:[0,1]
	v_pk_mov_b32 v[0:1], s[8:9], s[8:9] op_sel:[0,1]
	s_cbranch_scc1 .LBB4_11
; %bb.10:
	v_pk_mov_b32 v[0:1], s[10:11], s[10:11] op_sel:[0,1]
	flat_load_dwordx2 v[6:7], v[0:1]
	v_pk_mov_b32 v[0:1], s[8:9], s[8:9] op_sel:[0,1]
	flat_load_dwordx2 v[0:1], v[0:1]
	v_mov_b32_e32 v8, s1
	s_waitcnt vmcnt(0) lgkmcnt(0)
	v_add_co_u32_e32 v10, vcc, s0, v6
	v_addc_co_u32_e32 v11, vcc, v7, v8, vcc
.LBB4_11:
	v_cmp_ne_u32_e32 vcc, 0, v2
	s_and_b64 exec, exec, vcc
	s_cbranch_execz .LBB4_18
; %bb.12:
	v_mov_b32_e32 v6, s3
	v_add_co_u32_e32 v16, vcc, s2, v4
	s_mov_b32 s0, 0x5384540f
	v_mov_b32_e32 v8, v1
	v_addc_co_u32_e32 v17, vcc, v6, v5, vcc
	v_add_co_u32_e32 v20, vcc, s0, v0
	s_mov_b32 s0, 0x646e171e
	v_add_co_u32_e32 v21, vcc, s0, v8
	s_mov_b32 s0, 0x1715609d
	;; [unrolled: 2-line block ×6, first 2 shown]
	v_alignbit_b32 v27, v11, v10, 2
	s_mov_b32 s4, 0xd2511f53
	v_add_co_u32_e32 v26, vcc, s0, v0
	v_xor_b32_e32 v9, v1, v5
	v_mad_u64_u32 v[6:7], s[0:1], v27, s4, 0
	v_xor_b32_e32 v7, v9, v7
	s_mov_b32 s5, 0xcd9e8d57
	v_mad_u64_u32 v[12:13], s[0:1], v7, s5, 0
	v_xor_b32_e32 v7, v26, v13
	v_mad_u64_u32 v[28:29], s[0:1], v4, s5, 0
	v_xor_b32_e32 v7, v7, v28
	v_xor_b32_e32 v9, v29, v0
	v_lshrrev_b32_e32 v28, 2, v11
	v_mad_u64_u32 v[32:33], s[0:1], v7, s4, 0
	v_xor_b32_e32 v9, v9, v28
	v_xor_b32_e32 v7, v25, v33
	v_mad_u64_u32 v[30:31], s[0:1], v9, s4, 0
	v_xor_b32_e32 v7, v7, v30
	v_mad_u64_u32 v[34:35], s[0:1], v7, s5, 0
	s_mov_b32 s0, 0xbb67ae85
	v_add_co_u32_e32 v29, vcc, s0, v8
	v_xor_b32_e32 v7, v29, v31
	v_xor_b32_e32 v6, v7, v6
	v_xor_b32_e32 v9, v24, v35
	v_mad_u64_u32 v[6:7], s[0:1], v6, s5, 0
	v_xor_b32_e32 v6, v9, v6
	v_mad_u64_u32 v[36:37], s[0:1], v6, s4, 0
	s_mov_b32 s0, 0x3c6ef372
	v_add_co_u32_e32 v30, vcc, s0, v0
	v_xor_b32_e32 v6, v30, v7
	;; [unrolled: 8-line block ×6, first 2 shown]
	v_add_co_u32_e32 v19, vcc, 0xdb3d7428, v8
	v_xor_b32_e32 v7, v7, v12
	v_xor_b32_e32 v6, v19, v37
	v_mad_u64_u32 v[12:13], s[0:1], v7, s4, 0
	v_xor_b32_e32 v6, v6, v12
	v_mad_u64_u32 v[6:7], s[0:1], v6, s5, 0
	s_mov_b32 s0, 0x1fd5c5a3
	v_add_co_u32_e32 v35, vcc, s0, v8
	v_xor_b32_e32 v8, v35, v13
	v_xor_b32_e32 v8, v8, v38
	v_mad_u64_u32 v[8:9], s[0:1], v8, s5, 0
	v_add_u32_e32 v14, 0x8ff34781, v0
	v_xor_b32_e32 v7, v7, v8
	s_mov_b32 s0, 0xf1bbcdc8
	v_xor_b32_e32 v37, v14, v7
	v_add_co_u32_e32 v7, vcc, s0, v0
	v_xor_b32_e32 v8, v7, v9
	v_xor_b32_e32 v8, v8, v40
	v_mad_u64_u32 v[8:9], s[0:1], v8, s4, 0
	v_add_u32_e32 v15, 0x96a522ad, v1
	v_xor_b32_e32 v9, v9, v36
	v_xor_b32_e32 v38, v15, v9
	v_not_b32_e32 v18, v2
	v_and_b32_e32 v36, 3, v10
	s_mov_b64 s[0:1], 0
	v_mov_b32_e32 v13, v37
	v_mov_b32_e32 v11, v38
	s_branch .LBB4_14
.LBB4_13:                               ;   in Loop: Header=BB4_14 Depth=1
	s_or_b64 exec, exec, s[2:3]
	v_add_co_u32_e32 v36, vcc, -1, v2
	v_addc_co_u32_e32 v37, vcc, -1, v3, vcc
	v_cmp_gt_i32_e32 vcc, 2, v2
	v_add_u32_e32 v18, 1, v18
	s_or_b64 s[0:1], vcc, s[0:1]
	v_pk_mov_b32 v[2:3], v[36:37], v[36:37] op_sel:[0,1]
	v_mov_b32_e32 v36, v9
	v_mov_b32_e32 v37, v13
	;; [unrolled: 1-line block ×5, first 2 shown]
	s_andn2_b64 exec, exec, s[0:1]
	s_cbranch_execz .LBB4_18
.LBB4_14:                               ; =>This Inner Loop Header: Depth=1
	v_add_u32_e32 v9, 1, v36
	v_cmp_eq_u32_e32 vcc, 4, v9
	v_mov_b32_e32 v12, v6
	v_mov_b32_e32 v10, v8
	s_and_saveexec_b64 s[2:3], vcc
	s_cbranch_execz .LBB4_16
; %bb.15:                               ;   in Loop: Header=BB4_14 Depth=1
	v_add_co_u32_e32 v27, vcc, 1, v27
	v_cndmask_b32_e64 v10, 0, 1, vcc
	v_addc_co_u32_e32 v28, vcc, 0, v28, vcc
	v_cmp_eq_u32_e32 vcc, 0, v28
	v_cndmask_b32_e32 v10, 0, v10, vcc
	v_add_u32_e32 v4, v10, v4
	v_cmp_eq_u32_e32 vcc, 0, v4
	v_cndmask_b32_e32 v10, 0, v10, vcc
	v_add_u32_e32 v5, v10, v5
	v_mad_u64_u32 v[10:11], s[6:7], v27, s4, 0
	v_mad_u64_u32 v[12:13], s[6:7], v4, s5, 0
	v_xor_b32_e32 v11, v11, v1
	v_xor_b32_e32 v13, v13, v0
	v_xor_b32_e32 v11, v5, v11
	v_xor_b32_e32 v13, v28, v13
	v_mad_u64_u32 v[42:43], s[6:7], v11, s5, 0
	v_mad_u64_u32 v[40:41], s[6:7], v13, s4, 0
	v_xor_b32_e32 v11, v26, v43
	v_xor_b32_e32 v11, v11, v12
	v_xor_b32_e32 v12, v29, v41
	v_xor_b32_e32 v12, v12, v10
	;; [unrolled: 6-line block ×9, first 2 shown]
	v_mad_u64_u32 v[10:11], s[6:7], v10, s4, 0
	v_mad_u64_u32 v[12:13], s[6:7], v12, s5, 0
	v_xor_b32_e32 v13, v13, v46
	v_xor_b32_e32 v11, v11, v44
	v_mov_b32_e32 v9, 0
	v_xor_b32_e32 v13, v14, v13
	v_xor_b32_e32 v11, v15, v11
.LBB4_16:                               ;   in Loop: Header=BB4_14 Depth=1
	s_or_b64 exec, exec, s[2:3]
	v_add_u32_e32 v39, 1, v2
	v_cvt_f32_u32_e32 v40, v39
	v_cmp_eq_u32_e32 vcc, 1, v36
	v_cndmask_b32_e32 v6, v37, v6, vcc
	v_cmp_eq_u32_e32 vcc, 2, v36
	v_rcp_iflag_f32_e32 v40, v40
	v_cndmask_b32_e32 v6, v6, v38, vcc
	v_cmp_eq_u32_e32 vcc, 3, v36
	v_cndmask_b32_e32 v6, v6, v8, vcc
	v_mul_f32_e32 v37, 0x4f7ffffe, v40
	v_cvt_u32_f32_e32 v37, v37
	v_mul_lo_u32 v8, v18, v37
	v_mul_hi_u32 v8, v37, v8
	v_add_u32_e32 v8, v37, v8
	v_mul_hi_u32 v8, v6, v8
	v_mul_lo_u32 v8, v8, v39
	v_sub_u32_e32 v6, v6, v8
	v_sub_u32_e32 v8, v6, v39
	v_cmp_ge_u32_e32 vcc, v6, v39
	v_cndmask_b32_e32 v6, v6, v8, vcc
	v_add_u32_e32 v8, v6, v18
	v_cmp_ge_u32_e32 vcc, v6, v39
	v_cndmask_b32_e32 v6, v6, v8, vcc
	v_cmp_ne_u32_e32 vcc, v2, v6
	s_and_saveexec_b64 s[2:3], vcc
	s_cbranch_execz .LBB4_13
; %bb.17:                               ;   in Loop: Header=BB4_14 Depth=1
	v_add_co_u32_e32 v36, vcc, v16, v6
	v_addc_co_u32_e32 v37, vcc, 0, v17, vcc
	v_add_co_u32_e32 v38, vcc, v16, v2
	v_addc_co_u32_e32 v39, vcc, v17, v3, vcc
	global_load_ubyte v6, v[36:37], off
	global_load_ubyte v8, v[38:39], off
	s_waitcnt vmcnt(1)
	global_store_byte v[38:39], v6, off
	s_waitcnt vmcnt(1)
	global_store_byte v[36:37], v8, off
	s_branch .LBB4_13
.LBB4_18:
	s_endpgm
	.section	.rodata,"a",@progbits
	.p2align	6, 0x0
	.amdhsa_kernel _ZN12_GLOBAL__N_137randperm_handle_duplicate_keys_kernelIlN2at6native12_GLOBAL__N_110OpaqueTypeILi1EEEEEvPT_PT0_S6_iNS1_15PhiloxCudaStateE
		.amdhsa_group_segment_fixed_size 0
		.amdhsa_private_segment_fixed_size 0
		.amdhsa_kernarg_size 320
		.amdhsa_user_sgpr_count 6
		.amdhsa_user_sgpr_private_segment_buffer 1
		.amdhsa_user_sgpr_dispatch_ptr 0
		.amdhsa_user_sgpr_queue_ptr 0
		.amdhsa_user_sgpr_kernarg_segment_ptr 1
		.amdhsa_user_sgpr_dispatch_id 0
		.amdhsa_user_sgpr_flat_scratch_init 0
		.amdhsa_user_sgpr_kernarg_preload_length 0
		.amdhsa_user_sgpr_kernarg_preload_offset 0
		.amdhsa_user_sgpr_private_segment_size 0
		.amdhsa_uses_dynamic_stack 0
		.amdhsa_system_sgpr_private_segment_wavefront_offset 0
		.amdhsa_system_sgpr_workgroup_id_x 1
		.amdhsa_system_sgpr_workgroup_id_y 0
		.amdhsa_system_sgpr_workgroup_id_z 0
		.amdhsa_system_sgpr_workgroup_info 0
		.amdhsa_system_vgpr_workitem_id 0
		.amdhsa_next_free_vgpr 48
		.amdhsa_next_free_sgpr 28
		.amdhsa_accum_offset 48
		.amdhsa_reserve_vcc 1
		.amdhsa_reserve_flat_scratch 0
		.amdhsa_float_round_mode_32 0
		.amdhsa_float_round_mode_16_64 0
		.amdhsa_float_denorm_mode_32 3
		.amdhsa_float_denorm_mode_16_64 3
		.amdhsa_dx10_clamp 1
		.amdhsa_ieee_mode 1
		.amdhsa_fp16_overflow 0
		.amdhsa_tg_split 0
		.amdhsa_exception_fp_ieee_invalid_op 0
		.amdhsa_exception_fp_denorm_src 0
		.amdhsa_exception_fp_ieee_div_zero 0
		.amdhsa_exception_fp_ieee_overflow 0
		.amdhsa_exception_fp_ieee_underflow 0
		.amdhsa_exception_fp_ieee_inexact 0
		.amdhsa_exception_int_div_zero 0
	.end_amdhsa_kernel
	.section	.text._ZN12_GLOBAL__N_137randperm_handle_duplicate_keys_kernelIlN2at6native12_GLOBAL__N_110OpaqueTypeILi1EEEEEvPT_PT0_S6_iNS1_15PhiloxCudaStateE,"axG",@progbits,_ZN12_GLOBAL__N_137randperm_handle_duplicate_keys_kernelIlN2at6native12_GLOBAL__N_110OpaqueTypeILi1EEEEEvPT_PT0_S6_iNS1_15PhiloxCudaStateE,comdat
.Lfunc_end4:
	.size	_ZN12_GLOBAL__N_137randperm_handle_duplicate_keys_kernelIlN2at6native12_GLOBAL__N_110OpaqueTypeILi1EEEEEvPT_PT0_S6_iNS1_15PhiloxCudaStateE, .Lfunc_end4-_ZN12_GLOBAL__N_137randperm_handle_duplicate_keys_kernelIlN2at6native12_GLOBAL__N_110OpaqueTypeILi1EEEEEvPT_PT0_S6_iNS1_15PhiloxCudaStateE
                                        ; -- End function
	.section	.AMDGPU.csdata,"",@progbits
; Kernel info:
; codeLenInByte = 1732
; NumSgprs: 32
; NumVgprs: 48
; NumAgprs: 0
; TotalNumVgprs: 48
; ScratchSize: 0
; MemoryBound: 0
; FloatMode: 240
; IeeeMode: 1
; LDSByteSize: 0 bytes/workgroup (compile time only)
; SGPRBlocks: 3
; VGPRBlocks: 5
; NumSGPRsForWavesPerEU: 32
; NumVGPRsForWavesPerEU: 48
; AccumOffset: 48
; Occupancy: 8
; WaveLimiterHint : 0
; COMPUTE_PGM_RSRC2:SCRATCH_EN: 0
; COMPUTE_PGM_RSRC2:USER_SGPR: 6
; COMPUTE_PGM_RSRC2:TRAP_HANDLER: 0
; COMPUTE_PGM_RSRC2:TGID_X_EN: 1
; COMPUTE_PGM_RSRC2:TGID_Y_EN: 0
; COMPUTE_PGM_RSRC2:TGID_Z_EN: 0
; COMPUTE_PGM_RSRC2:TIDIG_COMP_CNT: 0
; COMPUTE_PGM_RSRC3_GFX90A:ACCUM_OFFSET: 11
; COMPUTE_PGM_RSRC3_GFX90A:TG_SPLIT: 0
	.section	.text._ZN12_GLOBAL__N_137randperm_handle_duplicate_keys_kernelIlN2at6native12_GLOBAL__N_110OpaqueTypeILi4EEEEEvPT_PT0_S6_iNS1_15PhiloxCudaStateE,"axG",@progbits,_ZN12_GLOBAL__N_137randperm_handle_duplicate_keys_kernelIlN2at6native12_GLOBAL__N_110OpaqueTypeILi4EEEEEvPT_PT0_S6_iNS1_15PhiloxCudaStateE,comdat
	.globl	_ZN12_GLOBAL__N_137randperm_handle_duplicate_keys_kernelIlN2at6native12_GLOBAL__N_110OpaqueTypeILi4EEEEEvPT_PT0_S6_iNS1_15PhiloxCudaStateE ; -- Begin function _ZN12_GLOBAL__N_137randperm_handle_duplicate_keys_kernelIlN2at6native12_GLOBAL__N_110OpaqueTypeILi4EEEEEvPT_PT0_S6_iNS1_15PhiloxCudaStateE
	.p2align	8
	.type	_ZN12_GLOBAL__N_137randperm_handle_duplicate_keys_kernelIlN2at6native12_GLOBAL__N_110OpaqueTypeILi4EEEEEvPT_PT0_S6_iNS1_15PhiloxCudaStateE,@function
_ZN12_GLOBAL__N_137randperm_handle_duplicate_keys_kernelIlN2at6native12_GLOBAL__N_110OpaqueTypeILi4EEEEEvPT_PT0_S6_iNS1_15PhiloxCudaStateE: ; @_ZN12_GLOBAL__N_137randperm_handle_duplicate_keys_kernelIlN2at6native12_GLOBAL__N_110OpaqueTypeILi4EEEEEvPT_PT0_S6_iNS1_15PhiloxCudaStateE
; %bb.0:
	s_load_dword s0, s[4:5], 0x4c
	s_load_dword s20, s[4:5], 0x18
	s_waitcnt lgkmcnt(0)
	s_and_b32 s0, s0, 0xffff
	s_mul_i32 s6, s6, s0
	v_add_u32_e32 v4, s6, v0
	s_add_i32 s0, s20, -1
	v_cmp_gt_i32_e32 vcc, s0, v4
	s_and_saveexec_b64 s[0:1], vcc
	s_cbranch_execz .LBB5_20
; %bb.1:
	s_load_dwordx4 s[0:3], s[4:5], 0x0
	s_load_dwordx2 s[6:7], s[4:5], 0x10
	v_ashrrev_i32_e32 v5, 31, v4
	v_lshlrev_b64 v[0:1], 3, v[4:5]
	s_waitcnt lgkmcnt(0)
	v_mov_b32_e32 v2, s1
	v_add_co_u32_e32 v6, vcc, s0, v0
	v_addc_co_u32_e32 v7, vcc, v2, v1, vcc
	global_load_dwordx4 v[0:3], v[6:7], off
	s_waitcnt vmcnt(0)
	v_and_b32_e32 v9, s7, v1
	v_and_b32_e32 v8, s6, v0
	;; [unrolled: 1-line block ×4, first 2 shown]
	v_cmp_eq_u64_e32 vcc, v[8:9], v[2:3]
	s_and_b64 exec, exec, vcc
	s_cbranch_execz .LBB5_20
; %bb.2:
	v_cmp_eq_u32_e64 s[0:1], 0, v4
	v_cmp_ne_u32_e32 vcc, 0, v4
	s_and_saveexec_b64 s[8:9], vcc
	s_cbranch_execz .LBB5_4
; %bb.3:
	global_load_dwordx2 v[2:3], v[6:7], off offset:-8
	s_andn2_b64 s[0:1], s[0:1], exec
	s_waitcnt vmcnt(0)
	v_and_b32_e32 v3, s7, v3
	v_and_b32_e32 v2, s6, v2
	v_cmp_ne_u64_e32 vcc, v[8:9], v[2:3]
	s_and_b64 s[10:11], vcc, exec
	s_or_b64 s[0:1], s[0:1], s[10:11]
.LBB5_4:
	s_or_b64 exec, exec, s[8:9]
	s_and_b64 exec, exec, s[0:1]
	s_cbranch_execz .LBB5_20
; %bb.5:
	s_load_dwordx4 s[8:11], s[4:5], 0x20
	s_load_dwordx2 s[0:1], s[4:5], 0x30
	s_load_dword s21, s[4:5], 0x38
	v_add_co_u32_e32 v6, vcc, 8, v6
	v_addc_co_u32_e32 v7, vcc, 0, v7, vcc
	v_lshlrev_b64 v[8:9], 2, v[4:5]
	v_mov_b32_e32 v2, s3
	v_add_co_u32_e32 v10, vcc, s2, v8
	v_addc_co_u32_e32 v11, vcc, v2, v9, vcc
	s_mov_b32 s22, 1
	s_mov_b64 s[4:5], 0
                                        ; implicit-def: $sgpr12_sgpr13
                                        ; implicit-def: $sgpr16_sgpr17
                                        ; implicit-def: $sgpr14_sgpr15
	s_branch .LBB5_7
.LBB5_6:                                ;   in Loop: Header=BB5_7 Depth=1
	s_or_b64 exec, exec, s[18:19]
	s_and_b64 s[18:19], exec, s[16:17]
	s_or_b64 s[4:5], s[18:19], s[4:5]
	s_andn2_b64 s[12:13], s[12:13], exec
	s_and_b64 s[18:19], s[14:15], exec
	v_mov_b32_e32 v16, s22
	s_or_b64 s[12:13], s[12:13], s[18:19]
	s_mov_b32 s22, s23
	s_andn2_b64 exec, exec, s[4:5]
	s_cbranch_execz .LBB5_9
.LBB5_7:                                ; =>This Inner Loop Header: Depth=1
	v_pk_mov_b32 v[2:3], v[10:11], v[10:11] op_sel:[0,1]
	v_add_u32_e32 v10, s22, v4
	v_cmp_gt_i32_e32 vcc, s20, v10
	s_or_b64 s[14:15], s[14:15], exec
	s_or_b64 s[16:17], s[16:17], exec
                                        ; implicit-def: $sgpr23
                                        ; implicit-def: $vgpr10_vgpr11
	s_and_saveexec_b64 s[18:19], vcc
	s_cbranch_execz .LBB5_6
; %bb.8:                                ;   in Loop: Header=BB5_7 Depth=1
	global_load_dwordx2 v[12:13], v[6:7], off
	v_add_co_u32_e32 v10, vcc, 4, v2
	v_addc_co_u32_e32 v11, vcc, 0, v3, vcc
	v_add_co_u32_e32 v6, vcc, 8, v6
	v_addc_co_u32_e32 v7, vcc, 0, v7, vcc
	s_andn2_b64 s[16:17], s[16:17], exec
	s_add_i32 s23, s22, 1
	s_andn2_b64 s[14:15], s[14:15], exec
	s_waitcnt vmcnt(0)
	v_xor_b32_e32 v13, v13, v1
	v_xor_b32_e32 v12, v12, v0
	v_and_b32_e32 v13, s7, v13
	v_and_b32_e32 v12, s6, v12
	v_cmp_ne_u64_e32 vcc, 0, v[12:13]
	s_and_b64 s[24:25], vcc, exec
	s_or_b64 s[16:17], s[16:17], s[24:25]
	s_branch .LBB5_6
.LBB5_9:
	s_or_b64 exec, exec, s[4:5]
	s_xor_b64 s[4:5], s[12:13], -1
	v_add_u32_e32 v6, -1, v16
	s_and_saveexec_b64 s[6:7], s[4:5]
	s_xor_b64 s[4:5], exec, s[6:7]
; %bb.10:
	v_add_u32_e32 v6, -1, v16
; %bb.11:
	s_andn2_saveexec_b64 s[4:5], s[4:5]
	s_or_b64 exec, exec, s[4:5]
	s_waitcnt lgkmcnt(0)
	s_bitcmp0_b32 s21, 0
	v_pk_mov_b32 v[12:13], s[10:11], s[10:11] op_sel:[0,1]
	v_pk_mov_b32 v[0:1], s[8:9], s[8:9] op_sel:[0,1]
	s_cbranch_scc1 .LBB5_13
; %bb.12:
	v_pk_mov_b32 v[0:1], s[10:11], s[10:11] op_sel:[0,1]
	flat_load_dwordx2 v[10:11], v[0:1]
	v_pk_mov_b32 v[0:1], s[8:9], s[8:9] op_sel:[0,1]
	flat_load_dwordx2 v[0:1], v[0:1]
	v_mov_b32_e32 v7, s1
	s_waitcnt vmcnt(0) lgkmcnt(0)
	v_add_co_u32_e32 v12, vcc, s0, v10
	v_addc_co_u32_e32 v13, vcc, v11, v7, vcc
.LBB5_13:
	v_cmp_ne_u32_e32 vcc, 0, v6
	s_and_b64 exec, exec, vcc
	s_cbranch_execz .LBB5_20
; %bb.14:
	v_mov_b32_e32 v10, s3
	v_add_co_u32_e32 v19, vcc, s2, v8
	s_mov_b32 s0, 0x5384540f
	v_mov_b32_e32 v6, v1
	v_addc_co_u32_e32 v20, vcc, v10, v9, vcc
	v_add_co_u32_e32 v23, vcc, s0, v0
	s_mov_b32 s0, 0x646e171e
	v_add_co_u32_e32 v24, vcc, s0, v6
	s_mov_b32 s0, 0x1715609d
	;; [unrolled: 2-line block ×6, first 2 shown]
	v_alignbit_b32 v30, v13, v12, 2
	s_mov_b32 s4, 0xd2511f53
	v_add_co_u32_e32 v29, vcc, s0, v0
	v_xor_b32_e32 v10, v1, v5
	v_mad_u64_u32 v[8:9], s[0:1], v30, s4, 0
	v_xor_b32_e32 v9, v10, v9
	s_mov_b32 s5, 0xcd9e8d57
	v_mad_u64_u32 v[10:11], s[0:1], v9, s5, 0
	v_xor_b32_e32 v9, v29, v11
	v_mad_u64_u32 v[14:15], s[0:1], v4, s5, 0
	v_xor_b32_e32 v9, v9, v14
	v_xor_b32_e32 v11, v15, v0
	v_lshrrev_b32_e32 v31, 2, v13
	v_mad_u64_u32 v[36:37], s[0:1], v9, s4, 0
	v_xor_b32_e32 v11, v11, v31
	v_xor_b32_e32 v9, v28, v37
	v_mad_u64_u32 v[14:15], s[0:1], v11, s4, 0
	v_xor_b32_e32 v9, v9, v14
	v_mad_u64_u32 v[38:39], s[0:1], v9, s5, 0
	s_mov_b32 s0, 0xbb67ae85
	v_add_co_u32_e32 v32, vcc, s0, v6
	v_xor_b32_e32 v9, v32, v15
	v_xor_b32_e32 v8, v9, v8
	v_xor_b32_e32 v11, v27, v39
	v_mad_u64_u32 v[8:9], s[0:1], v8, s5, 0
	v_xor_b32_e32 v8, v11, v8
	v_mad_u64_u32 v[14:15], s[0:1], v8, s4, 0
	s_mov_b32 s0, 0x3c6ef372
	v_add_co_u32_e32 v33, vcc, s0, v0
	v_xor_b32_e32 v8, v33, v9
	;; [unrolled: 8-line block ×6, first 2 shown]
	v_add_co_u32_e32 v22, vcc, 0xdb3d7428, v6
	v_xor_b32_e32 v9, v9, v10
	v_xor_b32_e32 v8, v22, v15
	v_mad_u64_u32 v[10:11], s[0:1], v9, s4, 0
	v_xor_b32_e32 v8, v8, v10
	v_mad_u64_u32 v[8:9], s[0:1], v8, s5, 0
	s_mov_b32 s0, 0x1fd5c5a3
	v_add_co_u32_e32 v38, vcc, s0, v6
	v_xor_b32_e32 v6, v38, v11
	v_xor_b32_e32 v6, v6, v40
	v_mad_u64_u32 v[10:11], s[0:1], v6, s5, 0
	s_mov_b32 s0, 0xf1bbcdc8
	v_add_u32_e32 v17, 0x8ff34781, v0
	v_xor_b32_e32 v6, v9, v10
	v_add_co_u32_e32 v9, vcc, s0, v0
	v_xor_b32_e32 v39, v17, v6
	v_xor_b32_e32 v6, v9, v11
	;; [unrolled: 1-line block ×3, first 2 shown]
	v_mad_u64_u32 v[10:11], s[0:1], v6, s4, 0
	v_add_u32_e32 v18, 0x96a522ad, v1
	v_xor_b32_e32 v6, v11, v14
	v_xor_b32_e32 v40, v18, v6
	v_mov_b32_e32 v7, 0
	v_sub_u32_e32 v21, 0, v16
	v_and_b32_e32 v6, 3, v12
	s_mov_b64 s[0:1], 0
	v_mov_b32_e32 v15, v39
	v_mov_b32_e32 v13, v40
	s_branch .LBB5_16
.LBB5_15:                               ;   in Loop: Header=BB5_16 Depth=1
	s_or_b64 exec, exec, s[2:3]
	v_add_co_u32_e32 v2, vcc, -4, v2
	v_addc_co_u32_e32 v3, vcc, -1, v3, vcc
	v_cmp_gt_i32_e32 vcc, 2, v41
	v_add_u32_e32 v21, 1, v21
	s_or_b64 s[0:1], vcc, s[0:1]
	v_mov_b32_e32 v16, v41
	v_mov_b32_e32 v6, v11
	;; [unrolled: 1-line block ×6, first 2 shown]
	s_andn2_b64 exec, exec, s[0:1]
	s_cbranch_execz .LBB5_20
.LBB5_16:                               ; =>This Inner Loop Header: Depth=1
	v_add_u32_e32 v11, 1, v6
	v_cmp_eq_u32_e32 vcc, 4, v11
	v_mov_b32_e32 v14, v8
	v_mov_b32_e32 v12, v10
	s_and_saveexec_b64 s[2:3], vcc
	s_cbranch_execz .LBB5_18
; %bb.17:                               ;   in Loop: Header=BB5_16 Depth=1
	v_add_co_u32_e32 v30, vcc, 1, v30
	v_cndmask_b32_e64 v12, 0, 1, vcc
	v_addc_co_u32_e32 v31, vcc, 0, v31, vcc
	v_cmp_eq_u32_e32 vcc, 0, v31
	v_cndmask_b32_e32 v12, 0, v12, vcc
	v_add_u32_e32 v4, v12, v4
	v_cmp_eq_u32_e32 vcc, 0, v4
	v_cndmask_b32_e32 v12, 0, v12, vcc
	v_add_u32_e32 v5, v12, v5
	v_mad_u64_u32 v[12:13], s[6:7], v30, s4, 0
	v_mad_u64_u32 v[14:15], s[6:7], v4, s5, 0
	v_xor_b32_e32 v13, v13, v1
	v_xor_b32_e32 v15, v15, v0
	v_xor_b32_e32 v13, v5, v13
	v_xor_b32_e32 v15, v31, v15
	v_mad_u64_u32 v[44:45], s[6:7], v13, s5, 0
	v_mad_u64_u32 v[42:43], s[6:7], v15, s4, 0
	v_xor_b32_e32 v13, v29, v45
	v_xor_b32_e32 v13, v13, v14
	v_xor_b32_e32 v14, v32, v43
	v_xor_b32_e32 v14, v14, v12
	;; [unrolled: 6-line block ×9, first 2 shown]
	v_mad_u64_u32 v[12:13], s[6:7], v12, s4, 0
	v_mad_u64_u32 v[14:15], s[6:7], v14, s5, 0
	v_xor_b32_e32 v15, v15, v48
	v_xor_b32_e32 v13, v13, v46
	v_mov_b32_e32 v11, 0
	v_xor_b32_e32 v15, v17, v15
	v_xor_b32_e32 v13, v18, v13
.LBB5_18:                               ;   in Loop: Header=BB5_16 Depth=1
	s_or_b64 exec, exec, s[2:3]
	v_cvt_f32_u32_e32 v41, v16
	v_cmp_eq_u32_e32 vcc, 1, v6
	v_cndmask_b32_e32 v8, v39, v8, vcc
	v_cmp_eq_u32_e32 vcc, 2, v6
	v_rcp_iflag_f32_e32 v42, v41
	v_cndmask_b32_e32 v8, v8, v40, vcc
	v_cmp_eq_u32_e32 vcc, 3, v6
	v_cndmask_b32_e32 v6, v8, v10, vcc
	v_mul_f32_e32 v39, 0x4f7ffffe, v42
	v_cvt_u32_f32_e32 v39, v39
	v_add_u32_e32 v41, -1, v16
	v_mul_lo_u32 v8, v21, v39
	v_mul_hi_u32 v8, v39, v8
	v_add_u32_e32 v8, v39, v8
	v_mul_hi_u32 v8, v6, v8
	v_mul_lo_u32 v8, v8, v16
	v_sub_u32_e32 v6, v6, v8
	v_sub_u32_e32 v8, v6, v16
	v_cmp_ge_u32_e32 vcc, v6, v16
	v_cndmask_b32_e32 v6, v6, v8, vcc
	v_add_u32_e32 v8, v6, v21
	v_cmp_ge_u32_e32 vcc, v6, v16
	v_cndmask_b32_e32 v6, v6, v8, vcc
	v_cmp_ne_u32_e32 vcc, v41, v6
	s_and_saveexec_b64 s[2:3], vcc
	s_cbranch_execz .LBB5_15
; %bb.19:                               ;   in Loop: Header=BB5_16 Depth=1
	v_lshlrev_b64 v[42:43], 2, v[6:7]
	v_add_co_u32_e32 v42, vcc, v19, v42
	v_addc_co_u32_e32 v43, vcc, v20, v43, vcc
	global_load_dword v6, v[42:43], off
	global_load_dword v8, v[2:3], off
	s_waitcnt vmcnt(1)
	global_store_dword v[2:3], v6, off
	s_waitcnt vmcnt(1)
	global_store_dword v[42:43], v8, off
	s_branch .LBB5_15
.LBB5_20:
	s_endpgm
	.section	.rodata,"a",@progbits
	.p2align	6, 0x0
	.amdhsa_kernel _ZN12_GLOBAL__N_137randperm_handle_duplicate_keys_kernelIlN2at6native12_GLOBAL__N_110OpaqueTypeILi4EEEEEvPT_PT0_S6_iNS1_15PhiloxCudaStateE
		.amdhsa_group_segment_fixed_size 0
		.amdhsa_private_segment_fixed_size 0
		.amdhsa_kernarg_size 320
		.amdhsa_user_sgpr_count 6
		.amdhsa_user_sgpr_private_segment_buffer 1
		.amdhsa_user_sgpr_dispatch_ptr 0
		.amdhsa_user_sgpr_queue_ptr 0
		.amdhsa_user_sgpr_kernarg_segment_ptr 1
		.amdhsa_user_sgpr_dispatch_id 0
		.amdhsa_user_sgpr_flat_scratch_init 0
		.amdhsa_user_sgpr_kernarg_preload_length 0
		.amdhsa_user_sgpr_kernarg_preload_offset 0
		.amdhsa_user_sgpr_private_segment_size 0
		.amdhsa_uses_dynamic_stack 0
		.amdhsa_system_sgpr_private_segment_wavefront_offset 0
		.amdhsa_system_sgpr_workgroup_id_x 1
		.amdhsa_system_sgpr_workgroup_id_y 0
		.amdhsa_system_sgpr_workgroup_id_z 0
		.amdhsa_system_sgpr_workgroup_info 0
		.amdhsa_system_vgpr_workitem_id 0
		.amdhsa_next_free_vgpr 50
		.amdhsa_next_free_sgpr 26
		.amdhsa_accum_offset 52
		.amdhsa_reserve_vcc 1
		.amdhsa_reserve_flat_scratch 0
		.amdhsa_float_round_mode_32 0
		.amdhsa_float_round_mode_16_64 0
		.amdhsa_float_denorm_mode_32 3
		.amdhsa_float_denorm_mode_16_64 3
		.amdhsa_dx10_clamp 1
		.amdhsa_ieee_mode 1
		.amdhsa_fp16_overflow 0
		.amdhsa_tg_split 0
		.amdhsa_exception_fp_ieee_invalid_op 0
		.amdhsa_exception_fp_denorm_src 0
		.amdhsa_exception_fp_ieee_div_zero 0
		.amdhsa_exception_fp_ieee_overflow 0
		.amdhsa_exception_fp_ieee_underflow 0
		.amdhsa_exception_fp_ieee_inexact 0
		.amdhsa_exception_int_div_zero 0
	.end_amdhsa_kernel
	.section	.text._ZN12_GLOBAL__N_137randperm_handle_duplicate_keys_kernelIlN2at6native12_GLOBAL__N_110OpaqueTypeILi4EEEEEvPT_PT0_S6_iNS1_15PhiloxCudaStateE,"axG",@progbits,_ZN12_GLOBAL__N_137randperm_handle_duplicate_keys_kernelIlN2at6native12_GLOBAL__N_110OpaqueTypeILi4EEEEEvPT_PT0_S6_iNS1_15PhiloxCudaStateE,comdat
.Lfunc_end5:
	.size	_ZN12_GLOBAL__N_137randperm_handle_duplicate_keys_kernelIlN2at6native12_GLOBAL__N_110OpaqueTypeILi4EEEEEvPT_PT0_S6_iNS1_15PhiloxCudaStateE, .Lfunc_end5-_ZN12_GLOBAL__N_137randperm_handle_duplicate_keys_kernelIlN2at6native12_GLOBAL__N_110OpaqueTypeILi4EEEEEvPT_PT0_S6_iNS1_15PhiloxCudaStateE
                                        ; -- End function
	.section	.AMDGPU.csdata,"",@progbits
; Kernel info:
; codeLenInByte = 1764
; NumSgprs: 30
; NumVgprs: 50
; NumAgprs: 0
; TotalNumVgprs: 50
; ScratchSize: 0
; MemoryBound: 0
; FloatMode: 240
; IeeeMode: 1
; LDSByteSize: 0 bytes/workgroup (compile time only)
; SGPRBlocks: 3
; VGPRBlocks: 6
; NumSGPRsForWavesPerEU: 30
; NumVGPRsForWavesPerEU: 50
; AccumOffset: 52
; Occupancy: 8
; WaveLimiterHint : 0
; COMPUTE_PGM_RSRC2:SCRATCH_EN: 0
; COMPUTE_PGM_RSRC2:USER_SGPR: 6
; COMPUTE_PGM_RSRC2:TRAP_HANDLER: 0
; COMPUTE_PGM_RSRC2:TGID_X_EN: 1
; COMPUTE_PGM_RSRC2:TGID_Y_EN: 0
; COMPUTE_PGM_RSRC2:TGID_Z_EN: 0
; COMPUTE_PGM_RSRC2:TIDIG_COMP_CNT: 0
; COMPUTE_PGM_RSRC3_GFX90A:ACCUM_OFFSET: 12
; COMPUTE_PGM_RSRC3_GFX90A:TG_SPLIT: 0
	.section	.text._ZN12_GLOBAL__N_137randperm_handle_duplicate_keys_kernelIlN2at6native12_GLOBAL__N_110OpaqueTypeILi8EEEEEvPT_PT0_S6_iNS1_15PhiloxCudaStateE,"axG",@progbits,_ZN12_GLOBAL__N_137randperm_handle_duplicate_keys_kernelIlN2at6native12_GLOBAL__N_110OpaqueTypeILi8EEEEEvPT_PT0_S6_iNS1_15PhiloxCudaStateE,comdat
	.globl	_ZN12_GLOBAL__N_137randperm_handle_duplicate_keys_kernelIlN2at6native12_GLOBAL__N_110OpaqueTypeILi8EEEEEvPT_PT0_S6_iNS1_15PhiloxCudaStateE ; -- Begin function _ZN12_GLOBAL__N_137randperm_handle_duplicate_keys_kernelIlN2at6native12_GLOBAL__N_110OpaqueTypeILi8EEEEEvPT_PT0_S6_iNS1_15PhiloxCudaStateE
	.p2align	8
	.type	_ZN12_GLOBAL__N_137randperm_handle_duplicate_keys_kernelIlN2at6native12_GLOBAL__N_110OpaqueTypeILi8EEEEEvPT_PT0_S6_iNS1_15PhiloxCudaStateE,@function
_ZN12_GLOBAL__N_137randperm_handle_duplicate_keys_kernelIlN2at6native12_GLOBAL__N_110OpaqueTypeILi8EEEEEvPT_PT0_S6_iNS1_15PhiloxCudaStateE: ; @_ZN12_GLOBAL__N_137randperm_handle_duplicate_keys_kernelIlN2at6native12_GLOBAL__N_110OpaqueTypeILi8EEEEEvPT_PT0_S6_iNS1_15PhiloxCudaStateE
; %bb.0:
	s_load_dword s0, s[4:5], 0x4c
	s_load_dword s20, s[4:5], 0x18
	s_waitcnt lgkmcnt(0)
	s_and_b32 s0, s0, 0xffff
	s_mul_i32 s6, s6, s0
	v_add_u32_e32 v4, s6, v0
	s_add_i32 s0, s20, -1
	v_cmp_gt_i32_e32 vcc, s0, v4
	s_and_saveexec_b64 s[0:1], vcc
	s_cbranch_execz .LBB6_20
; %bb.1:
	s_load_dwordx4 s[0:3], s[4:5], 0x0
	s_load_dwordx2 s[6:7], s[4:5], 0x10
	v_ashrrev_i32_e32 v5, 31, v4
	v_lshlrev_b64 v[8:9], 3, v[4:5]
	s_waitcnt lgkmcnt(0)
	v_mov_b32_e32 v0, s1
	v_add_co_u32_e32 v6, vcc, s0, v8
	v_addc_co_u32_e32 v7, vcc, v0, v9, vcc
	global_load_dwordx4 v[0:3], v[6:7], off
	s_waitcnt vmcnt(0)
	v_and_b32_e32 v11, s7, v1
	v_and_b32_e32 v10, s6, v0
	;; [unrolled: 1-line block ×4, first 2 shown]
	v_cmp_eq_u64_e32 vcc, v[10:11], v[2:3]
	s_and_b64 exec, exec, vcc
	s_cbranch_execz .LBB6_20
; %bb.2:
	v_cmp_eq_u32_e64 s[0:1], 0, v4
	v_cmp_ne_u32_e32 vcc, 0, v4
	s_and_saveexec_b64 s[8:9], vcc
	s_cbranch_execz .LBB6_4
; %bb.3:
	global_load_dwordx2 v[2:3], v[6:7], off offset:-8
	s_andn2_b64 s[0:1], s[0:1], exec
	s_waitcnt vmcnt(0)
	v_and_b32_e32 v3, s7, v3
	v_and_b32_e32 v2, s6, v2
	v_cmp_ne_u64_e32 vcc, v[10:11], v[2:3]
	s_and_b64 s[10:11], vcc, exec
	s_or_b64 s[0:1], s[0:1], s[10:11]
.LBB6_4:
	s_or_b64 exec, exec, s[8:9]
	s_and_b64 exec, exec, s[0:1]
	s_cbranch_execz .LBB6_20
; %bb.5:
	s_load_dwordx4 s[8:11], s[4:5], 0x20
	s_load_dwordx2 s[0:1], s[4:5], 0x30
	s_load_dword s21, s[4:5], 0x38
	v_add_co_u32_e32 v6, vcc, 8, v6
	v_addc_co_u32_e32 v7, vcc, 0, v7, vcc
	v_mov_b32_e32 v2, s3
	v_add_co_u32_e32 v10, vcc, s2, v8
	v_addc_co_u32_e32 v11, vcc, v2, v9, vcc
	s_mov_b32 s22, 1
	s_mov_b64 s[4:5], 0
                                        ; implicit-def: $sgpr12_sgpr13
                                        ; implicit-def: $sgpr16_sgpr17
                                        ; implicit-def: $sgpr14_sgpr15
	s_branch .LBB6_7
.LBB6_6:                                ;   in Loop: Header=BB6_7 Depth=1
	s_or_b64 exec, exec, s[18:19]
	s_and_b64 s[18:19], exec, s[16:17]
	s_or_b64 s[4:5], s[18:19], s[4:5]
	s_andn2_b64 s[12:13], s[12:13], exec
	s_and_b64 s[18:19], s[14:15], exec
	v_mov_b32_e32 v16, s22
	s_or_b64 s[12:13], s[12:13], s[18:19]
	s_mov_b32 s22, s23
	s_andn2_b64 exec, exec, s[4:5]
	s_cbranch_execz .LBB6_9
.LBB6_7:                                ; =>This Inner Loop Header: Depth=1
	v_pk_mov_b32 v[2:3], v[10:11], v[10:11] op_sel:[0,1]
	v_add_u32_e32 v10, s22, v4
	v_cmp_gt_i32_e32 vcc, s20, v10
	s_or_b64 s[14:15], s[14:15], exec
	s_or_b64 s[16:17], s[16:17], exec
                                        ; implicit-def: $sgpr23
                                        ; implicit-def: $vgpr10_vgpr11
	s_and_saveexec_b64 s[18:19], vcc
	s_cbranch_execz .LBB6_6
; %bb.8:                                ;   in Loop: Header=BB6_7 Depth=1
	global_load_dwordx2 v[12:13], v[6:7], off
	v_add_co_u32_e32 v10, vcc, 8, v2
	v_addc_co_u32_e32 v11, vcc, 0, v3, vcc
	v_add_co_u32_e32 v6, vcc, 8, v6
	v_addc_co_u32_e32 v7, vcc, 0, v7, vcc
	s_andn2_b64 s[16:17], s[16:17], exec
	s_add_i32 s23, s22, 1
	s_andn2_b64 s[14:15], s[14:15], exec
	s_waitcnt vmcnt(0)
	v_xor_b32_e32 v13, v13, v1
	v_xor_b32_e32 v12, v12, v0
	v_and_b32_e32 v13, s7, v13
	v_and_b32_e32 v12, s6, v12
	v_cmp_ne_u64_e32 vcc, 0, v[12:13]
	s_and_b64 s[24:25], vcc, exec
	s_or_b64 s[16:17], s[16:17], s[24:25]
	s_branch .LBB6_6
.LBB6_9:
	s_or_b64 exec, exec, s[4:5]
	s_xor_b64 s[4:5], s[12:13], -1
	v_add_u32_e32 v6, -1, v16
	s_and_saveexec_b64 s[6:7], s[4:5]
	s_xor_b64 s[4:5], exec, s[6:7]
; %bb.10:
	v_add_u32_e32 v6, -1, v16
; %bb.11:
	s_andn2_saveexec_b64 s[4:5], s[4:5]
	s_or_b64 exec, exec, s[4:5]
	s_waitcnt lgkmcnt(0)
	s_bitcmp0_b32 s21, 0
	v_pk_mov_b32 v[12:13], s[10:11], s[10:11] op_sel:[0,1]
	v_pk_mov_b32 v[0:1], s[8:9], s[8:9] op_sel:[0,1]
	s_cbranch_scc1 .LBB6_13
; %bb.12:
	v_pk_mov_b32 v[0:1], s[10:11], s[10:11] op_sel:[0,1]
	flat_load_dwordx2 v[10:11], v[0:1]
	v_pk_mov_b32 v[0:1], s[8:9], s[8:9] op_sel:[0,1]
	flat_load_dwordx2 v[0:1], v[0:1]
	v_mov_b32_e32 v7, s1
	s_waitcnt vmcnt(0) lgkmcnt(0)
	v_add_co_u32_e32 v12, vcc, s0, v10
	v_addc_co_u32_e32 v13, vcc, v11, v7, vcc
.LBB6_13:
	v_cmp_ne_u32_e32 vcc, 0, v6
	s_and_b64 exec, exec, vcc
	s_cbranch_execz .LBB6_20
; %bb.14:
	v_mov_b32_e32 v10, s3
	v_add_co_u32_e32 v19, vcc, s2, v8
	s_mov_b32 s0, 0x5384540f
	v_mov_b32_e32 v6, v1
	v_addc_co_u32_e32 v20, vcc, v10, v9, vcc
	v_add_co_u32_e32 v23, vcc, s0, v0
	s_mov_b32 s0, 0x646e171e
	v_add_co_u32_e32 v24, vcc, s0, v6
	s_mov_b32 s0, 0x1715609d
	;; [unrolled: 2-line block ×6, first 2 shown]
	v_alignbit_b32 v30, v13, v12, 2
	s_mov_b32 s4, 0xd2511f53
	v_add_co_u32_e32 v29, vcc, s0, v0
	v_xor_b32_e32 v10, v1, v5
	v_mad_u64_u32 v[8:9], s[0:1], v30, s4, 0
	v_xor_b32_e32 v9, v10, v9
	s_mov_b32 s5, 0xcd9e8d57
	v_mad_u64_u32 v[10:11], s[0:1], v9, s5, 0
	v_xor_b32_e32 v9, v29, v11
	v_mad_u64_u32 v[14:15], s[0:1], v4, s5, 0
	v_xor_b32_e32 v9, v9, v14
	v_xor_b32_e32 v11, v15, v0
	v_lshrrev_b32_e32 v31, 2, v13
	v_mad_u64_u32 v[36:37], s[0:1], v9, s4, 0
	v_xor_b32_e32 v11, v11, v31
	v_xor_b32_e32 v9, v28, v37
	v_mad_u64_u32 v[14:15], s[0:1], v11, s4, 0
	v_xor_b32_e32 v9, v9, v14
	v_mad_u64_u32 v[38:39], s[0:1], v9, s5, 0
	s_mov_b32 s0, 0xbb67ae85
	v_add_co_u32_e32 v32, vcc, s0, v6
	v_xor_b32_e32 v9, v32, v15
	v_xor_b32_e32 v8, v9, v8
	v_xor_b32_e32 v11, v27, v39
	v_mad_u64_u32 v[8:9], s[0:1], v8, s5, 0
	v_xor_b32_e32 v8, v11, v8
	v_mad_u64_u32 v[14:15], s[0:1], v8, s4, 0
	s_mov_b32 s0, 0x3c6ef372
	v_add_co_u32_e32 v33, vcc, s0, v0
	v_xor_b32_e32 v8, v33, v9
	;; [unrolled: 8-line block ×6, first 2 shown]
	v_add_co_u32_e32 v22, vcc, 0xdb3d7428, v6
	v_xor_b32_e32 v9, v9, v10
	v_xor_b32_e32 v8, v22, v15
	v_mad_u64_u32 v[10:11], s[0:1], v9, s4, 0
	v_xor_b32_e32 v8, v8, v10
	v_mad_u64_u32 v[8:9], s[0:1], v8, s5, 0
	s_mov_b32 s0, 0x1fd5c5a3
	v_add_co_u32_e32 v38, vcc, s0, v6
	v_xor_b32_e32 v6, v38, v11
	v_xor_b32_e32 v6, v6, v40
	v_mad_u64_u32 v[10:11], s[0:1], v6, s5, 0
	s_mov_b32 s0, 0xf1bbcdc8
	v_add_u32_e32 v17, 0x8ff34781, v0
	v_xor_b32_e32 v6, v9, v10
	v_add_co_u32_e32 v9, vcc, s0, v0
	v_xor_b32_e32 v39, v17, v6
	v_xor_b32_e32 v6, v9, v11
	;; [unrolled: 1-line block ×3, first 2 shown]
	v_mad_u64_u32 v[10:11], s[0:1], v6, s4, 0
	v_add_u32_e32 v18, 0x96a522ad, v1
	v_xor_b32_e32 v6, v11, v14
	v_xor_b32_e32 v40, v18, v6
	v_mov_b32_e32 v7, 0
	v_sub_u32_e32 v21, 0, v16
	v_and_b32_e32 v6, 3, v12
	s_mov_b64 s[0:1], 0
	v_mov_b32_e32 v15, v39
	v_mov_b32_e32 v13, v40
	s_branch .LBB6_16
.LBB6_15:                               ;   in Loop: Header=BB6_16 Depth=1
	s_or_b64 exec, exec, s[2:3]
	v_add_co_u32_e32 v2, vcc, -8, v2
	v_addc_co_u32_e32 v3, vcc, -1, v3, vcc
	v_cmp_gt_i32_e32 vcc, 2, v41
	v_add_u32_e32 v21, 1, v21
	s_or_b64 s[0:1], vcc, s[0:1]
	v_mov_b32_e32 v16, v41
	v_mov_b32_e32 v6, v11
	;; [unrolled: 1-line block ×6, first 2 shown]
	s_andn2_b64 exec, exec, s[0:1]
	s_cbranch_execz .LBB6_20
.LBB6_16:                               ; =>This Inner Loop Header: Depth=1
	v_add_u32_e32 v11, 1, v6
	v_cmp_eq_u32_e32 vcc, 4, v11
	v_mov_b32_e32 v14, v8
	v_mov_b32_e32 v12, v10
	s_and_saveexec_b64 s[2:3], vcc
	s_cbranch_execz .LBB6_18
; %bb.17:                               ;   in Loop: Header=BB6_16 Depth=1
	v_add_co_u32_e32 v30, vcc, 1, v30
	v_cndmask_b32_e64 v12, 0, 1, vcc
	v_addc_co_u32_e32 v31, vcc, 0, v31, vcc
	v_cmp_eq_u32_e32 vcc, 0, v31
	v_cndmask_b32_e32 v12, 0, v12, vcc
	v_add_u32_e32 v4, v12, v4
	v_cmp_eq_u32_e32 vcc, 0, v4
	v_cndmask_b32_e32 v12, 0, v12, vcc
	v_add_u32_e32 v5, v12, v5
	v_mad_u64_u32 v[12:13], s[6:7], v30, s4, 0
	v_mad_u64_u32 v[14:15], s[6:7], v4, s5, 0
	v_xor_b32_e32 v13, v13, v1
	v_xor_b32_e32 v15, v15, v0
	v_xor_b32_e32 v13, v5, v13
	v_xor_b32_e32 v15, v31, v15
	v_mad_u64_u32 v[44:45], s[6:7], v13, s5, 0
	v_mad_u64_u32 v[42:43], s[6:7], v15, s4, 0
	v_xor_b32_e32 v13, v29, v45
	v_xor_b32_e32 v13, v13, v14
	v_xor_b32_e32 v14, v32, v43
	v_xor_b32_e32 v14, v14, v12
	;; [unrolled: 6-line block ×9, first 2 shown]
	v_mad_u64_u32 v[12:13], s[6:7], v12, s4, 0
	v_mad_u64_u32 v[14:15], s[6:7], v14, s5, 0
	v_xor_b32_e32 v15, v15, v48
	v_xor_b32_e32 v13, v13, v46
	v_mov_b32_e32 v11, 0
	v_xor_b32_e32 v15, v17, v15
	v_xor_b32_e32 v13, v18, v13
.LBB6_18:                               ;   in Loop: Header=BB6_16 Depth=1
	s_or_b64 exec, exec, s[2:3]
	v_cvt_f32_u32_e32 v41, v16
	v_cmp_eq_u32_e32 vcc, 1, v6
	v_cndmask_b32_e32 v8, v39, v8, vcc
	v_cmp_eq_u32_e32 vcc, 2, v6
	v_rcp_iflag_f32_e32 v42, v41
	v_cndmask_b32_e32 v8, v8, v40, vcc
	v_cmp_eq_u32_e32 vcc, 3, v6
	v_cndmask_b32_e32 v6, v8, v10, vcc
	v_mul_f32_e32 v39, 0x4f7ffffe, v42
	v_cvt_u32_f32_e32 v39, v39
	v_add_u32_e32 v41, -1, v16
	v_mul_lo_u32 v8, v21, v39
	v_mul_hi_u32 v8, v39, v8
	v_add_u32_e32 v8, v39, v8
	v_mul_hi_u32 v8, v6, v8
	v_mul_lo_u32 v8, v8, v16
	v_sub_u32_e32 v6, v6, v8
	v_sub_u32_e32 v8, v6, v16
	v_cmp_ge_u32_e32 vcc, v6, v16
	v_cndmask_b32_e32 v6, v6, v8, vcc
	v_add_u32_e32 v8, v6, v21
	v_cmp_ge_u32_e32 vcc, v6, v16
	v_cndmask_b32_e32 v6, v6, v8, vcc
	v_cmp_ne_u32_e32 vcc, v41, v6
	s_and_saveexec_b64 s[2:3], vcc
	s_cbranch_execz .LBB6_15
; %bb.19:                               ;   in Loop: Header=BB6_16 Depth=1
	v_lshlrev_b64 v[42:43], 3, v[6:7]
	v_add_co_u32_e32 v42, vcc, v19, v42
	v_addc_co_u32_e32 v43, vcc, v20, v43, vcc
	global_load_dwordx2 v[44:45], v[42:43], off
	global_load_dwordx2 v[46:47], v[2:3], off
	s_waitcnt vmcnt(1)
	global_store_dwordx2 v[2:3], v[44:45], off
	s_waitcnt vmcnt(1)
	global_store_dwordx2 v[42:43], v[46:47], off
	s_branch .LBB6_15
.LBB6_20:
	s_endpgm
	.section	.rodata,"a",@progbits
	.p2align	6, 0x0
	.amdhsa_kernel _ZN12_GLOBAL__N_137randperm_handle_duplicate_keys_kernelIlN2at6native12_GLOBAL__N_110OpaqueTypeILi8EEEEEvPT_PT0_S6_iNS1_15PhiloxCudaStateE
		.amdhsa_group_segment_fixed_size 0
		.amdhsa_private_segment_fixed_size 0
		.amdhsa_kernarg_size 320
		.amdhsa_user_sgpr_count 6
		.amdhsa_user_sgpr_private_segment_buffer 1
		.amdhsa_user_sgpr_dispatch_ptr 0
		.amdhsa_user_sgpr_queue_ptr 0
		.amdhsa_user_sgpr_kernarg_segment_ptr 1
		.amdhsa_user_sgpr_dispatch_id 0
		.amdhsa_user_sgpr_flat_scratch_init 0
		.amdhsa_user_sgpr_kernarg_preload_length 0
		.amdhsa_user_sgpr_kernarg_preload_offset 0
		.amdhsa_user_sgpr_private_segment_size 0
		.amdhsa_uses_dynamic_stack 0
		.amdhsa_system_sgpr_private_segment_wavefront_offset 0
		.amdhsa_system_sgpr_workgroup_id_x 1
		.amdhsa_system_sgpr_workgroup_id_y 0
		.amdhsa_system_sgpr_workgroup_id_z 0
		.amdhsa_system_sgpr_workgroup_info 0
		.amdhsa_system_vgpr_workitem_id 0
		.amdhsa_next_free_vgpr 50
		.amdhsa_next_free_sgpr 26
		.amdhsa_accum_offset 52
		.amdhsa_reserve_vcc 1
		.amdhsa_reserve_flat_scratch 0
		.amdhsa_float_round_mode_32 0
		.amdhsa_float_round_mode_16_64 0
		.amdhsa_float_denorm_mode_32 3
		.amdhsa_float_denorm_mode_16_64 3
		.amdhsa_dx10_clamp 1
		.amdhsa_ieee_mode 1
		.amdhsa_fp16_overflow 0
		.amdhsa_tg_split 0
		.amdhsa_exception_fp_ieee_invalid_op 0
		.amdhsa_exception_fp_denorm_src 0
		.amdhsa_exception_fp_ieee_div_zero 0
		.amdhsa_exception_fp_ieee_overflow 0
		.amdhsa_exception_fp_ieee_underflow 0
		.amdhsa_exception_fp_ieee_inexact 0
		.amdhsa_exception_int_div_zero 0
	.end_amdhsa_kernel
	.section	.text._ZN12_GLOBAL__N_137randperm_handle_duplicate_keys_kernelIlN2at6native12_GLOBAL__N_110OpaqueTypeILi8EEEEEvPT_PT0_S6_iNS1_15PhiloxCudaStateE,"axG",@progbits,_ZN12_GLOBAL__N_137randperm_handle_duplicate_keys_kernelIlN2at6native12_GLOBAL__N_110OpaqueTypeILi8EEEEEvPT_PT0_S6_iNS1_15PhiloxCudaStateE,comdat
.Lfunc_end6:
	.size	_ZN12_GLOBAL__N_137randperm_handle_duplicate_keys_kernelIlN2at6native12_GLOBAL__N_110OpaqueTypeILi8EEEEEvPT_PT0_S6_iNS1_15PhiloxCudaStateE, .Lfunc_end6-_ZN12_GLOBAL__N_137randperm_handle_duplicate_keys_kernelIlN2at6native12_GLOBAL__N_110OpaqueTypeILi8EEEEEvPT_PT0_S6_iNS1_15PhiloxCudaStateE
                                        ; -- End function
	.section	.AMDGPU.csdata,"",@progbits
; Kernel info:
; codeLenInByte = 1756
; NumSgprs: 30
; NumVgprs: 50
; NumAgprs: 0
; TotalNumVgprs: 50
; ScratchSize: 0
; MemoryBound: 1
; FloatMode: 240
; IeeeMode: 1
; LDSByteSize: 0 bytes/workgroup (compile time only)
; SGPRBlocks: 3
; VGPRBlocks: 6
; NumSGPRsForWavesPerEU: 30
; NumVGPRsForWavesPerEU: 50
; AccumOffset: 52
; Occupancy: 8
; WaveLimiterHint : 0
; COMPUTE_PGM_RSRC2:SCRATCH_EN: 0
; COMPUTE_PGM_RSRC2:USER_SGPR: 6
; COMPUTE_PGM_RSRC2:TRAP_HANDLER: 0
; COMPUTE_PGM_RSRC2:TGID_X_EN: 1
; COMPUTE_PGM_RSRC2:TGID_Y_EN: 0
; COMPUTE_PGM_RSRC2:TGID_Z_EN: 0
; COMPUTE_PGM_RSRC2:TIDIG_COMP_CNT: 0
; COMPUTE_PGM_RSRC3_GFX90A:ACCUM_OFFSET: 12
; COMPUTE_PGM_RSRC3_GFX90A:TG_SPLIT: 0
	.section	.text._ZN12_GLOBAL__N_137randperm_handle_duplicate_keys_kernelIlN2at6native12_GLOBAL__N_110OpaqueTypeILi2EEEEEvPT_PT0_S6_iNS1_15PhiloxCudaStateE,"axG",@progbits,_ZN12_GLOBAL__N_137randperm_handle_duplicate_keys_kernelIlN2at6native12_GLOBAL__N_110OpaqueTypeILi2EEEEEvPT_PT0_S6_iNS1_15PhiloxCudaStateE,comdat
	.globl	_ZN12_GLOBAL__N_137randperm_handle_duplicate_keys_kernelIlN2at6native12_GLOBAL__N_110OpaqueTypeILi2EEEEEvPT_PT0_S6_iNS1_15PhiloxCudaStateE ; -- Begin function _ZN12_GLOBAL__N_137randperm_handle_duplicate_keys_kernelIlN2at6native12_GLOBAL__N_110OpaqueTypeILi2EEEEEvPT_PT0_S6_iNS1_15PhiloxCudaStateE
	.p2align	8
	.type	_ZN12_GLOBAL__N_137randperm_handle_duplicate_keys_kernelIlN2at6native12_GLOBAL__N_110OpaqueTypeILi2EEEEEvPT_PT0_S6_iNS1_15PhiloxCudaStateE,@function
_ZN12_GLOBAL__N_137randperm_handle_duplicate_keys_kernelIlN2at6native12_GLOBAL__N_110OpaqueTypeILi2EEEEEvPT_PT0_S6_iNS1_15PhiloxCudaStateE: ; @_ZN12_GLOBAL__N_137randperm_handle_duplicate_keys_kernelIlN2at6native12_GLOBAL__N_110OpaqueTypeILi2EEEEEvPT_PT0_S6_iNS1_15PhiloxCudaStateE
; %bb.0:
	s_load_dword s0, s[4:5], 0x4c
	s_load_dword s20, s[4:5], 0x18
	s_waitcnt lgkmcnt(0)
	s_and_b32 s0, s0, 0xffff
	s_mul_i32 s6, s6, s0
	v_add_u32_e32 v4, s6, v0
	s_add_i32 s0, s20, -1
	v_cmp_gt_i32_e32 vcc, s0, v4
	s_and_saveexec_b64 s[0:1], vcc
	s_cbranch_execz .LBB7_20
; %bb.1:
	s_load_dwordx4 s[0:3], s[4:5], 0x0
	s_load_dwordx2 s[6:7], s[4:5], 0x10
	v_ashrrev_i32_e32 v5, 31, v4
	v_lshlrev_b64 v[0:1], 3, v[4:5]
	s_waitcnt lgkmcnt(0)
	v_mov_b32_e32 v2, s1
	v_add_co_u32_e32 v6, vcc, s0, v0
	v_addc_co_u32_e32 v7, vcc, v2, v1, vcc
	global_load_dwordx4 v[0:3], v[6:7], off
	s_waitcnt vmcnt(0)
	v_and_b32_e32 v9, s7, v1
	v_and_b32_e32 v8, s6, v0
	;; [unrolled: 1-line block ×4, first 2 shown]
	v_cmp_eq_u64_e32 vcc, v[8:9], v[2:3]
	s_and_b64 exec, exec, vcc
	s_cbranch_execz .LBB7_20
; %bb.2:
	v_cmp_eq_u32_e64 s[0:1], 0, v4
	v_cmp_ne_u32_e32 vcc, 0, v4
	s_and_saveexec_b64 s[8:9], vcc
	s_cbranch_execz .LBB7_4
; %bb.3:
	global_load_dwordx2 v[2:3], v[6:7], off offset:-8
	s_andn2_b64 s[0:1], s[0:1], exec
	s_waitcnt vmcnt(0)
	v_and_b32_e32 v3, s7, v3
	v_and_b32_e32 v2, s6, v2
	v_cmp_ne_u64_e32 vcc, v[8:9], v[2:3]
	s_and_b64 s[10:11], vcc, exec
	s_or_b64 s[0:1], s[0:1], s[10:11]
.LBB7_4:
	s_or_b64 exec, exec, s[8:9]
	s_and_b64 exec, exec, s[0:1]
	s_cbranch_execz .LBB7_20
; %bb.5:
	s_load_dwordx4 s[8:11], s[4:5], 0x20
	s_load_dwordx2 s[0:1], s[4:5], 0x30
	s_load_dword s21, s[4:5], 0x38
	v_add_co_u32_e32 v6, vcc, 8, v6
	v_addc_co_u32_e32 v7, vcc, 0, v7, vcc
	v_lshlrev_b64 v[8:9], 1, v[4:5]
	v_mov_b32_e32 v2, s3
	v_add_co_u32_e32 v10, vcc, s2, v8
	s_mov_b32 s22, 1
	v_addc_co_u32_e32 v11, vcc, v2, v9, vcc
	s_mov_b64 s[4:5], 0
                                        ; implicit-def: $sgpr12_sgpr13
                                        ; implicit-def: $sgpr16_sgpr17
                                        ; implicit-def: $sgpr14_sgpr15
	s_branch .LBB7_7
.LBB7_6:                                ;   in Loop: Header=BB7_7 Depth=1
	s_or_b64 exec, exec, s[18:19]
	s_and_b64 s[18:19], exec, s[16:17]
	s_or_b64 s[4:5], s[18:19], s[4:5]
	s_andn2_b64 s[12:13], s[12:13], exec
	s_and_b64 s[18:19], s[14:15], exec
	v_mov_b32_e32 v16, s22
	s_or_b64 s[12:13], s[12:13], s[18:19]
	s_mov_b32 s22, s23
	s_andn2_b64 exec, exec, s[4:5]
	s_cbranch_execz .LBB7_9
.LBB7_7:                                ; =>This Inner Loop Header: Depth=1
	v_pk_mov_b32 v[2:3], v[10:11], v[10:11] op_sel:[0,1]
	v_add_u32_e32 v10, s22, v4
	v_cmp_gt_i32_e32 vcc, s20, v10
	s_or_b64 s[14:15], s[14:15], exec
	s_or_b64 s[16:17], s[16:17], exec
                                        ; implicit-def: $sgpr23
                                        ; implicit-def: $vgpr10_vgpr11
	s_and_saveexec_b64 s[18:19], vcc
	s_cbranch_execz .LBB7_6
; %bb.8:                                ;   in Loop: Header=BB7_7 Depth=1
	global_load_dwordx2 v[12:13], v[6:7], off
	v_add_co_u32_e32 v10, vcc, 2, v2
	v_addc_co_u32_e32 v11, vcc, 0, v3, vcc
	v_add_co_u32_e32 v6, vcc, 8, v6
	v_addc_co_u32_e32 v7, vcc, 0, v7, vcc
	s_andn2_b64 s[16:17], s[16:17], exec
	s_add_i32 s23, s22, 1
	s_andn2_b64 s[14:15], s[14:15], exec
	s_waitcnt vmcnt(0)
	v_xor_b32_e32 v13, v13, v1
	v_xor_b32_e32 v12, v12, v0
	v_and_b32_e32 v13, s7, v13
	v_and_b32_e32 v12, s6, v12
	v_cmp_ne_u64_e32 vcc, 0, v[12:13]
	s_and_b64 s[24:25], vcc, exec
	s_or_b64 s[16:17], s[16:17], s[24:25]
	s_branch .LBB7_6
.LBB7_9:
	s_or_b64 exec, exec, s[4:5]
	s_xor_b64 s[4:5], s[12:13], -1
	v_add_u32_e32 v6, -1, v16
	s_and_saveexec_b64 s[6:7], s[4:5]
	s_xor_b64 s[4:5], exec, s[6:7]
; %bb.10:
	v_add_u32_e32 v6, -1, v16
; %bb.11:
	s_andn2_saveexec_b64 s[4:5], s[4:5]
	s_or_b64 exec, exec, s[4:5]
	s_waitcnt lgkmcnt(0)
	s_bitcmp0_b32 s21, 0
	v_pk_mov_b32 v[12:13], s[10:11], s[10:11] op_sel:[0,1]
	v_pk_mov_b32 v[0:1], s[8:9], s[8:9] op_sel:[0,1]
	s_cbranch_scc1 .LBB7_13
; %bb.12:
	v_pk_mov_b32 v[0:1], s[10:11], s[10:11] op_sel:[0,1]
	flat_load_dwordx2 v[10:11], v[0:1]
	v_pk_mov_b32 v[0:1], s[8:9], s[8:9] op_sel:[0,1]
	flat_load_dwordx2 v[0:1], v[0:1]
	v_mov_b32_e32 v7, s1
	s_waitcnt vmcnt(0) lgkmcnt(0)
	v_add_co_u32_e32 v12, vcc, s0, v10
	v_addc_co_u32_e32 v13, vcc, v11, v7, vcc
.LBB7_13:
	v_cmp_ne_u32_e32 vcc, 0, v6
	s_and_b64 exec, exec, vcc
	s_cbranch_execz .LBB7_20
; %bb.14:
	v_mov_b32_e32 v10, s3
	v_add_co_u32_e32 v19, vcc, s2, v8
	s_mov_b32 s0, 0x5384540f
	v_mov_b32_e32 v6, v1
	v_addc_co_u32_e32 v20, vcc, v10, v9, vcc
	v_add_co_u32_e32 v23, vcc, s0, v0
	s_mov_b32 s0, 0x646e171e
	v_add_co_u32_e32 v24, vcc, s0, v6
	s_mov_b32 s0, 0x1715609d
	;; [unrolled: 2-line block ×6, first 2 shown]
	v_alignbit_b32 v30, v13, v12, 2
	s_mov_b32 s4, 0xd2511f53
	v_add_co_u32_e32 v29, vcc, s0, v0
	v_xor_b32_e32 v10, v1, v5
	v_mad_u64_u32 v[8:9], s[0:1], v30, s4, 0
	v_xor_b32_e32 v9, v10, v9
	s_mov_b32 s5, 0xcd9e8d57
	v_mad_u64_u32 v[10:11], s[0:1], v9, s5, 0
	v_xor_b32_e32 v9, v29, v11
	v_mad_u64_u32 v[14:15], s[0:1], v4, s5, 0
	v_xor_b32_e32 v9, v9, v14
	v_xor_b32_e32 v11, v15, v0
	v_lshrrev_b32_e32 v31, 2, v13
	v_mad_u64_u32 v[36:37], s[0:1], v9, s4, 0
	v_xor_b32_e32 v11, v11, v31
	v_xor_b32_e32 v9, v28, v37
	v_mad_u64_u32 v[14:15], s[0:1], v11, s4, 0
	v_xor_b32_e32 v9, v9, v14
	v_mad_u64_u32 v[38:39], s[0:1], v9, s5, 0
	s_mov_b32 s0, 0xbb67ae85
	v_add_co_u32_e32 v32, vcc, s0, v6
	v_xor_b32_e32 v9, v32, v15
	v_xor_b32_e32 v8, v9, v8
	v_xor_b32_e32 v11, v27, v39
	v_mad_u64_u32 v[8:9], s[0:1], v8, s5, 0
	v_xor_b32_e32 v8, v11, v8
	v_mad_u64_u32 v[14:15], s[0:1], v8, s4, 0
	s_mov_b32 s0, 0x3c6ef372
	v_add_co_u32_e32 v33, vcc, s0, v0
	v_xor_b32_e32 v8, v33, v9
	;; [unrolled: 8-line block ×6, first 2 shown]
	v_add_co_u32_e32 v22, vcc, 0xdb3d7428, v6
	v_xor_b32_e32 v9, v9, v10
	v_xor_b32_e32 v8, v22, v15
	v_mad_u64_u32 v[10:11], s[0:1], v9, s4, 0
	v_xor_b32_e32 v8, v8, v10
	v_mad_u64_u32 v[8:9], s[0:1], v8, s5, 0
	s_mov_b32 s0, 0x1fd5c5a3
	v_add_co_u32_e32 v38, vcc, s0, v6
	v_xor_b32_e32 v6, v38, v11
	v_xor_b32_e32 v6, v6, v40
	v_mad_u64_u32 v[10:11], s[0:1], v6, s5, 0
	s_mov_b32 s0, 0xf1bbcdc8
	v_add_u32_e32 v17, 0x8ff34781, v0
	v_xor_b32_e32 v6, v9, v10
	v_add_co_u32_e32 v9, vcc, s0, v0
	v_xor_b32_e32 v39, v17, v6
	v_xor_b32_e32 v6, v9, v11
	;; [unrolled: 1-line block ×3, first 2 shown]
	v_mad_u64_u32 v[10:11], s[0:1], v6, s4, 0
	v_add_u32_e32 v18, 0x96a522ad, v1
	v_xor_b32_e32 v6, v11, v14
	v_xor_b32_e32 v40, v18, v6
	v_mov_b32_e32 v7, 0
	v_sub_u32_e32 v21, 0, v16
	v_and_b32_e32 v6, 3, v12
	s_mov_b64 s[0:1], 0
	v_mov_b32_e32 v15, v39
	v_mov_b32_e32 v13, v40
	s_branch .LBB7_16
.LBB7_15:                               ;   in Loop: Header=BB7_16 Depth=1
	s_or_b64 exec, exec, s[2:3]
	v_add_co_u32_e32 v2, vcc, -2, v2
	v_addc_co_u32_e32 v3, vcc, -1, v3, vcc
	v_cmp_gt_i32_e32 vcc, 2, v41
	v_add_u32_e32 v21, 1, v21
	s_or_b64 s[0:1], vcc, s[0:1]
	v_mov_b32_e32 v16, v41
	v_mov_b32_e32 v6, v11
	;; [unrolled: 1-line block ×6, first 2 shown]
	s_andn2_b64 exec, exec, s[0:1]
	s_cbranch_execz .LBB7_20
.LBB7_16:                               ; =>This Inner Loop Header: Depth=1
	v_add_u32_e32 v11, 1, v6
	v_cmp_eq_u32_e32 vcc, 4, v11
	v_mov_b32_e32 v14, v8
	v_mov_b32_e32 v12, v10
	s_and_saveexec_b64 s[2:3], vcc
	s_cbranch_execz .LBB7_18
; %bb.17:                               ;   in Loop: Header=BB7_16 Depth=1
	v_add_co_u32_e32 v30, vcc, 1, v30
	v_cndmask_b32_e64 v12, 0, 1, vcc
	v_addc_co_u32_e32 v31, vcc, 0, v31, vcc
	v_cmp_eq_u32_e32 vcc, 0, v31
	v_cndmask_b32_e32 v12, 0, v12, vcc
	v_add_u32_e32 v4, v12, v4
	v_cmp_eq_u32_e32 vcc, 0, v4
	v_cndmask_b32_e32 v12, 0, v12, vcc
	v_add_u32_e32 v5, v12, v5
	v_mad_u64_u32 v[12:13], s[6:7], v30, s4, 0
	v_mad_u64_u32 v[14:15], s[6:7], v4, s5, 0
	v_xor_b32_e32 v13, v13, v1
	v_xor_b32_e32 v15, v15, v0
	v_xor_b32_e32 v13, v5, v13
	v_xor_b32_e32 v15, v31, v15
	v_mad_u64_u32 v[44:45], s[6:7], v13, s5, 0
	v_mad_u64_u32 v[42:43], s[6:7], v15, s4, 0
	v_xor_b32_e32 v13, v29, v45
	v_xor_b32_e32 v13, v13, v14
	v_xor_b32_e32 v14, v32, v43
	v_xor_b32_e32 v14, v14, v12
	;; [unrolled: 6-line block ×9, first 2 shown]
	v_mad_u64_u32 v[12:13], s[6:7], v12, s4, 0
	v_mad_u64_u32 v[14:15], s[6:7], v14, s5, 0
	v_xor_b32_e32 v15, v15, v48
	v_xor_b32_e32 v13, v13, v46
	v_mov_b32_e32 v11, 0
	v_xor_b32_e32 v15, v17, v15
	v_xor_b32_e32 v13, v18, v13
.LBB7_18:                               ;   in Loop: Header=BB7_16 Depth=1
	s_or_b64 exec, exec, s[2:3]
	v_cvt_f32_u32_e32 v41, v16
	v_cmp_eq_u32_e32 vcc, 1, v6
	v_cndmask_b32_e32 v8, v39, v8, vcc
	v_cmp_eq_u32_e32 vcc, 2, v6
	v_rcp_iflag_f32_e32 v42, v41
	v_cndmask_b32_e32 v8, v8, v40, vcc
	v_cmp_eq_u32_e32 vcc, 3, v6
	v_cndmask_b32_e32 v6, v8, v10, vcc
	v_mul_f32_e32 v39, 0x4f7ffffe, v42
	v_cvt_u32_f32_e32 v39, v39
	v_add_u32_e32 v41, -1, v16
	v_mul_lo_u32 v8, v21, v39
	v_mul_hi_u32 v8, v39, v8
	v_add_u32_e32 v8, v39, v8
	v_mul_hi_u32 v8, v6, v8
	v_mul_lo_u32 v8, v8, v16
	v_sub_u32_e32 v6, v6, v8
	v_sub_u32_e32 v8, v6, v16
	v_cmp_ge_u32_e32 vcc, v6, v16
	v_cndmask_b32_e32 v6, v6, v8, vcc
	v_add_u32_e32 v8, v6, v21
	v_cmp_ge_u32_e32 vcc, v6, v16
	v_cndmask_b32_e32 v6, v6, v8, vcc
	v_cmp_ne_u32_e32 vcc, v41, v6
	s_and_saveexec_b64 s[2:3], vcc
	s_cbranch_execz .LBB7_15
; %bb.19:                               ;   in Loop: Header=BB7_16 Depth=1
	v_lshlrev_b64 v[42:43], 1, v[6:7]
	v_add_co_u32_e32 v42, vcc, v19, v42
	v_addc_co_u32_e32 v43, vcc, v20, v43, vcc
	global_load_ushort v6, v[42:43], off
	global_load_ushort v8, v[2:3], off
	s_waitcnt vmcnt(1)
	global_store_short v[2:3], v6, off
	s_waitcnt vmcnt(1)
	global_store_short v[42:43], v8, off
	s_branch .LBB7_15
.LBB7_20:
	s_endpgm
	.section	.rodata,"a",@progbits
	.p2align	6, 0x0
	.amdhsa_kernel _ZN12_GLOBAL__N_137randperm_handle_duplicate_keys_kernelIlN2at6native12_GLOBAL__N_110OpaqueTypeILi2EEEEEvPT_PT0_S6_iNS1_15PhiloxCudaStateE
		.amdhsa_group_segment_fixed_size 0
		.amdhsa_private_segment_fixed_size 0
		.amdhsa_kernarg_size 320
		.amdhsa_user_sgpr_count 6
		.amdhsa_user_sgpr_private_segment_buffer 1
		.amdhsa_user_sgpr_dispatch_ptr 0
		.amdhsa_user_sgpr_queue_ptr 0
		.amdhsa_user_sgpr_kernarg_segment_ptr 1
		.amdhsa_user_sgpr_dispatch_id 0
		.amdhsa_user_sgpr_flat_scratch_init 0
		.amdhsa_user_sgpr_kernarg_preload_length 0
		.amdhsa_user_sgpr_kernarg_preload_offset 0
		.amdhsa_user_sgpr_private_segment_size 0
		.amdhsa_uses_dynamic_stack 0
		.amdhsa_system_sgpr_private_segment_wavefront_offset 0
		.amdhsa_system_sgpr_workgroup_id_x 1
		.amdhsa_system_sgpr_workgroup_id_y 0
		.amdhsa_system_sgpr_workgroup_id_z 0
		.amdhsa_system_sgpr_workgroup_info 0
		.amdhsa_system_vgpr_workitem_id 0
		.amdhsa_next_free_vgpr 50
		.amdhsa_next_free_sgpr 26
		.amdhsa_accum_offset 52
		.amdhsa_reserve_vcc 1
		.amdhsa_reserve_flat_scratch 0
		.amdhsa_float_round_mode_32 0
		.amdhsa_float_round_mode_16_64 0
		.amdhsa_float_denorm_mode_32 3
		.amdhsa_float_denorm_mode_16_64 3
		.amdhsa_dx10_clamp 1
		.amdhsa_ieee_mode 1
		.amdhsa_fp16_overflow 0
		.amdhsa_tg_split 0
		.amdhsa_exception_fp_ieee_invalid_op 0
		.amdhsa_exception_fp_denorm_src 0
		.amdhsa_exception_fp_ieee_div_zero 0
		.amdhsa_exception_fp_ieee_overflow 0
		.amdhsa_exception_fp_ieee_underflow 0
		.amdhsa_exception_fp_ieee_inexact 0
		.amdhsa_exception_int_div_zero 0
	.end_amdhsa_kernel
	.section	.text._ZN12_GLOBAL__N_137randperm_handle_duplicate_keys_kernelIlN2at6native12_GLOBAL__N_110OpaqueTypeILi2EEEEEvPT_PT0_S6_iNS1_15PhiloxCudaStateE,"axG",@progbits,_ZN12_GLOBAL__N_137randperm_handle_duplicate_keys_kernelIlN2at6native12_GLOBAL__N_110OpaqueTypeILi2EEEEEvPT_PT0_S6_iNS1_15PhiloxCudaStateE,comdat
.Lfunc_end7:
	.size	_ZN12_GLOBAL__N_137randperm_handle_duplicate_keys_kernelIlN2at6native12_GLOBAL__N_110OpaqueTypeILi2EEEEEvPT_PT0_S6_iNS1_15PhiloxCudaStateE, .Lfunc_end7-_ZN12_GLOBAL__N_137randperm_handle_duplicate_keys_kernelIlN2at6native12_GLOBAL__N_110OpaqueTypeILi2EEEEEvPT_PT0_S6_iNS1_15PhiloxCudaStateE
                                        ; -- End function
	.section	.AMDGPU.csdata,"",@progbits
; Kernel info:
; codeLenInByte = 1764
; NumSgprs: 30
; NumVgprs: 50
; NumAgprs: 0
; TotalNumVgprs: 50
; ScratchSize: 0
; MemoryBound: 0
; FloatMode: 240
; IeeeMode: 1
; LDSByteSize: 0 bytes/workgroup (compile time only)
; SGPRBlocks: 3
; VGPRBlocks: 6
; NumSGPRsForWavesPerEU: 30
; NumVGPRsForWavesPerEU: 50
; AccumOffset: 52
; Occupancy: 8
; WaveLimiterHint : 0
; COMPUTE_PGM_RSRC2:SCRATCH_EN: 0
; COMPUTE_PGM_RSRC2:USER_SGPR: 6
; COMPUTE_PGM_RSRC2:TRAP_HANDLER: 0
; COMPUTE_PGM_RSRC2:TGID_X_EN: 1
; COMPUTE_PGM_RSRC2:TGID_Y_EN: 0
; COMPUTE_PGM_RSRC2:TGID_Z_EN: 0
; COMPUTE_PGM_RSRC2:TIDIG_COMP_CNT: 0
; COMPUTE_PGM_RSRC3_GFX90A:ACCUM_OFFSET: 12
; COMPUTE_PGM_RSRC3_GFX90A:TG_SPLIT: 0
	.text
	.p2alignl 6, 3212836864
	.fill 256, 4, 3212836864
	.type	__hip_cuid_7c016d66cd096452,@object ; @__hip_cuid_7c016d66cd096452
	.section	.bss,"aw",@nobits
	.globl	__hip_cuid_7c016d66cd096452
__hip_cuid_7c016d66cd096452:
	.byte	0                               ; 0x0
	.size	__hip_cuid_7c016d66cd096452, 1

	.ident	"AMD clang version 19.0.0git (https://github.com/RadeonOpenCompute/llvm-project roc-6.4.0 25133 c7fe45cf4b819c5991fe208aaa96edf142730f1d)"
	.section	".note.GNU-stack","",@progbits
	.addrsig
	.addrsig_sym __hip_cuid_7c016d66cd096452
	.amdgpu_metadata
---
amdhsa.kernels:
  - .agpr_count:     0
    .args:
      - .address_space:  global
        .offset:         0
        .size:           8
        .value_kind:     global_buffer
      - .address_space:  global
        .offset:         8
        .size:           8
        .value_kind:     global_buffer
      - .offset:         16
        .size:           4
        .value_kind:     by_value
      - .offset:         20
        .size:           4
        .value_kind:     by_value
      - .offset:         24
        .size:           32
        .value_kind:     by_value
      - .offset:         56
        .size:           4
        .value_kind:     hidden_block_count_x
      - .offset:         60
        .size:           4
        .value_kind:     hidden_block_count_y
      - .offset:         64
        .size:           4
        .value_kind:     hidden_block_count_z
      - .offset:         68
        .size:           2
        .value_kind:     hidden_group_size_x
      - .offset:         70
        .size:           2
        .value_kind:     hidden_group_size_y
      - .offset:         72
        .size:           2
        .value_kind:     hidden_group_size_z
      - .offset:         74
        .size:           2
        .value_kind:     hidden_remainder_x
      - .offset:         76
        .size:           2
        .value_kind:     hidden_remainder_y
      - .offset:         78
        .size:           2
        .value_kind:     hidden_remainder_z
      - .offset:         96
        .size:           8
        .value_kind:     hidden_global_offset_x
      - .offset:         104
        .size:           8
        .value_kind:     hidden_global_offset_y
      - .offset:         112
        .size:           8
        .value_kind:     hidden_global_offset_z
      - .offset:         120
        .size:           2
        .value_kind:     hidden_grid_dims
    .group_segment_fixed_size: 0
    .kernarg_segment_align: 8
    .kernarg_segment_size: 312
    .language:       OpenCL C
    .language_version:
      - 2
      - 0
    .max_flat_workgroup_size: 1024
    .name:           _ZN12_GLOBAL__N_137randperm_handle_duplicate_keys_kernelIiN2at6native12_GLOBAL__N_110OpaqueTypeILi1EEEEEvPT_PT0_S6_iNS1_15PhiloxCudaStateE
    .private_segment_fixed_size: 0
    .sgpr_count:     32
    .sgpr_spill_count: 0
    .symbol:         _ZN12_GLOBAL__N_137randperm_handle_duplicate_keys_kernelIiN2at6native12_GLOBAL__N_110OpaqueTypeILi1EEEEEvPT_PT0_S6_iNS1_15PhiloxCudaStateE.kd
    .uniform_work_group_size: 1
    .uses_dynamic_stack: false
    .vgpr_count:     48
    .vgpr_spill_count: 0
    .wavefront_size: 64
  - .agpr_count:     0
    .args:
      - .address_space:  global
        .offset:         0
        .size:           8
        .value_kind:     global_buffer
      - .address_space:  global
        .offset:         8
        .size:           8
        .value_kind:     global_buffer
      - .offset:         16
        .size:           4
        .value_kind:     by_value
      - .offset:         20
        .size:           4
        .value_kind:     by_value
      - .offset:         24
        .size:           32
        .value_kind:     by_value
      - .offset:         56
        .size:           4
        .value_kind:     hidden_block_count_x
      - .offset:         60
        .size:           4
        .value_kind:     hidden_block_count_y
      - .offset:         64
        .size:           4
        .value_kind:     hidden_block_count_z
      - .offset:         68
        .size:           2
        .value_kind:     hidden_group_size_x
      - .offset:         70
        .size:           2
        .value_kind:     hidden_group_size_y
      - .offset:         72
        .size:           2
        .value_kind:     hidden_group_size_z
      - .offset:         74
        .size:           2
        .value_kind:     hidden_remainder_x
      - .offset:         76
        .size:           2
        .value_kind:     hidden_remainder_y
      - .offset:         78
        .size:           2
        .value_kind:     hidden_remainder_z
      - .offset:         96
        .size:           8
        .value_kind:     hidden_global_offset_x
      - .offset:         104
        .size:           8
        .value_kind:     hidden_global_offset_y
      - .offset:         112
        .size:           8
        .value_kind:     hidden_global_offset_z
      - .offset:         120
        .size:           2
        .value_kind:     hidden_grid_dims
    .group_segment_fixed_size: 0
    .kernarg_segment_align: 8
    .kernarg_segment_size: 312
    .language:       OpenCL C
    .language_version:
      - 2
      - 0
    .max_flat_workgroup_size: 1024
    .name:           _ZN12_GLOBAL__N_137randperm_handle_duplicate_keys_kernelIiN2at6native12_GLOBAL__N_110OpaqueTypeILi4EEEEEvPT_PT0_S6_iNS1_15PhiloxCudaStateE
    .private_segment_fixed_size: 0
    .sgpr_count:     30
    .sgpr_spill_count: 0
    .symbol:         _ZN12_GLOBAL__N_137randperm_handle_duplicate_keys_kernelIiN2at6native12_GLOBAL__N_110OpaqueTypeILi4EEEEEvPT_PT0_S6_iNS1_15PhiloxCudaStateE.kd
    .uniform_work_group_size: 1
    .uses_dynamic_stack: false
    .vgpr_count:     50
    .vgpr_spill_count: 0
    .wavefront_size: 64
  - .agpr_count:     0
    .args:
      - .address_space:  global
        .offset:         0
        .size:           8
        .value_kind:     global_buffer
      - .address_space:  global
        .offset:         8
        .size:           8
        .value_kind:     global_buffer
      - .offset:         16
        .size:           4
        .value_kind:     by_value
      - .offset:         20
        .size:           4
        .value_kind:     by_value
      - .offset:         24
        .size:           32
        .value_kind:     by_value
      - .offset:         56
        .size:           4
        .value_kind:     hidden_block_count_x
      - .offset:         60
        .size:           4
        .value_kind:     hidden_block_count_y
      - .offset:         64
        .size:           4
        .value_kind:     hidden_block_count_z
      - .offset:         68
        .size:           2
        .value_kind:     hidden_group_size_x
      - .offset:         70
        .size:           2
        .value_kind:     hidden_group_size_y
      - .offset:         72
        .size:           2
        .value_kind:     hidden_group_size_z
      - .offset:         74
        .size:           2
        .value_kind:     hidden_remainder_x
      - .offset:         76
        .size:           2
        .value_kind:     hidden_remainder_y
      - .offset:         78
        .size:           2
        .value_kind:     hidden_remainder_z
      - .offset:         96
        .size:           8
        .value_kind:     hidden_global_offset_x
      - .offset:         104
        .size:           8
        .value_kind:     hidden_global_offset_y
      - .offset:         112
        .size:           8
        .value_kind:     hidden_global_offset_z
      - .offset:         120
        .size:           2
        .value_kind:     hidden_grid_dims
    .group_segment_fixed_size: 0
    .kernarg_segment_align: 8
    .kernarg_segment_size: 312
    .language:       OpenCL C
    .language_version:
      - 2
      - 0
    .max_flat_workgroup_size: 1024
    .name:           _ZN12_GLOBAL__N_137randperm_handle_duplicate_keys_kernelIiN2at6native12_GLOBAL__N_110OpaqueTypeILi8EEEEEvPT_PT0_S6_iNS1_15PhiloxCudaStateE
    .private_segment_fixed_size: 0
    .sgpr_count:     30
    .sgpr_spill_count: 0
    .symbol:         _ZN12_GLOBAL__N_137randperm_handle_duplicate_keys_kernelIiN2at6native12_GLOBAL__N_110OpaqueTypeILi8EEEEEvPT_PT0_S6_iNS1_15PhiloxCudaStateE.kd
    .uniform_work_group_size: 1
    .uses_dynamic_stack: false
    .vgpr_count:     50
    .vgpr_spill_count: 0
    .wavefront_size: 64
  - .agpr_count:     0
    .args:
      - .address_space:  global
        .offset:         0
        .size:           8
        .value_kind:     global_buffer
      - .address_space:  global
        .offset:         8
        .size:           8
        .value_kind:     global_buffer
      - .offset:         16
        .size:           4
        .value_kind:     by_value
      - .offset:         20
        .size:           4
        .value_kind:     by_value
      - .offset:         24
        .size:           32
        .value_kind:     by_value
      - .offset:         56
        .size:           4
        .value_kind:     hidden_block_count_x
      - .offset:         60
        .size:           4
        .value_kind:     hidden_block_count_y
      - .offset:         64
        .size:           4
        .value_kind:     hidden_block_count_z
      - .offset:         68
        .size:           2
        .value_kind:     hidden_group_size_x
      - .offset:         70
        .size:           2
        .value_kind:     hidden_group_size_y
      - .offset:         72
        .size:           2
        .value_kind:     hidden_group_size_z
      - .offset:         74
        .size:           2
        .value_kind:     hidden_remainder_x
      - .offset:         76
        .size:           2
        .value_kind:     hidden_remainder_y
      - .offset:         78
        .size:           2
        .value_kind:     hidden_remainder_z
      - .offset:         96
        .size:           8
        .value_kind:     hidden_global_offset_x
      - .offset:         104
        .size:           8
        .value_kind:     hidden_global_offset_y
      - .offset:         112
        .size:           8
        .value_kind:     hidden_global_offset_z
      - .offset:         120
        .size:           2
        .value_kind:     hidden_grid_dims
    .group_segment_fixed_size: 0
    .kernarg_segment_align: 8
    .kernarg_segment_size: 312
    .language:       OpenCL C
    .language_version:
      - 2
      - 0
    .max_flat_workgroup_size: 1024
    .name:           _ZN12_GLOBAL__N_137randperm_handle_duplicate_keys_kernelIiN2at6native12_GLOBAL__N_110OpaqueTypeILi2EEEEEvPT_PT0_S6_iNS1_15PhiloxCudaStateE
    .private_segment_fixed_size: 0
    .sgpr_count:     30
    .sgpr_spill_count: 0
    .symbol:         _ZN12_GLOBAL__N_137randperm_handle_duplicate_keys_kernelIiN2at6native12_GLOBAL__N_110OpaqueTypeILi2EEEEEvPT_PT0_S6_iNS1_15PhiloxCudaStateE.kd
    .uniform_work_group_size: 1
    .uses_dynamic_stack: false
    .vgpr_count:     50
    .vgpr_spill_count: 0
    .wavefront_size: 64
  - .agpr_count:     0
    .args:
      - .address_space:  global
        .offset:         0
        .size:           8
        .value_kind:     global_buffer
      - .address_space:  global
        .offset:         8
        .size:           8
        .value_kind:     global_buffer
      - .offset:         16
        .size:           8
        .value_kind:     by_value
      - .offset:         24
        .size:           4
        .value_kind:     by_value
      - .offset:         32
        .size:           32
        .value_kind:     by_value
      - .offset:         64
        .size:           4
        .value_kind:     hidden_block_count_x
      - .offset:         68
        .size:           4
        .value_kind:     hidden_block_count_y
      - .offset:         72
        .size:           4
        .value_kind:     hidden_block_count_z
      - .offset:         76
        .size:           2
        .value_kind:     hidden_group_size_x
      - .offset:         78
        .size:           2
        .value_kind:     hidden_group_size_y
      - .offset:         80
        .size:           2
        .value_kind:     hidden_group_size_z
      - .offset:         82
        .size:           2
        .value_kind:     hidden_remainder_x
      - .offset:         84
        .size:           2
        .value_kind:     hidden_remainder_y
      - .offset:         86
        .size:           2
        .value_kind:     hidden_remainder_z
      - .offset:         104
        .size:           8
        .value_kind:     hidden_global_offset_x
      - .offset:         112
        .size:           8
        .value_kind:     hidden_global_offset_y
      - .offset:         120
        .size:           8
        .value_kind:     hidden_global_offset_z
      - .offset:         128
        .size:           2
        .value_kind:     hidden_grid_dims
    .group_segment_fixed_size: 0
    .kernarg_segment_align: 8
    .kernarg_segment_size: 320
    .language:       OpenCL C
    .language_version:
      - 2
      - 0
    .max_flat_workgroup_size: 1024
    .name:           _ZN12_GLOBAL__N_137randperm_handle_duplicate_keys_kernelIlN2at6native12_GLOBAL__N_110OpaqueTypeILi1EEEEEvPT_PT0_S6_iNS1_15PhiloxCudaStateE
    .private_segment_fixed_size: 0
    .sgpr_count:     32
    .sgpr_spill_count: 0
    .symbol:         _ZN12_GLOBAL__N_137randperm_handle_duplicate_keys_kernelIlN2at6native12_GLOBAL__N_110OpaqueTypeILi1EEEEEvPT_PT0_S6_iNS1_15PhiloxCudaStateE.kd
    .uniform_work_group_size: 1
    .uses_dynamic_stack: false
    .vgpr_count:     48
    .vgpr_spill_count: 0
    .wavefront_size: 64
  - .agpr_count:     0
    .args:
      - .address_space:  global
        .offset:         0
        .size:           8
        .value_kind:     global_buffer
      - .address_space:  global
        .offset:         8
        .size:           8
        .value_kind:     global_buffer
      - .offset:         16
        .size:           8
        .value_kind:     by_value
      - .offset:         24
        .size:           4
        .value_kind:     by_value
      - .offset:         32
        .size:           32
        .value_kind:     by_value
      - .offset:         64
        .size:           4
        .value_kind:     hidden_block_count_x
      - .offset:         68
        .size:           4
        .value_kind:     hidden_block_count_y
      - .offset:         72
        .size:           4
        .value_kind:     hidden_block_count_z
      - .offset:         76
        .size:           2
        .value_kind:     hidden_group_size_x
      - .offset:         78
        .size:           2
        .value_kind:     hidden_group_size_y
      - .offset:         80
        .size:           2
        .value_kind:     hidden_group_size_z
      - .offset:         82
        .size:           2
        .value_kind:     hidden_remainder_x
      - .offset:         84
        .size:           2
        .value_kind:     hidden_remainder_y
      - .offset:         86
        .size:           2
        .value_kind:     hidden_remainder_z
      - .offset:         104
        .size:           8
        .value_kind:     hidden_global_offset_x
      - .offset:         112
        .size:           8
        .value_kind:     hidden_global_offset_y
      - .offset:         120
        .size:           8
        .value_kind:     hidden_global_offset_z
      - .offset:         128
        .size:           2
        .value_kind:     hidden_grid_dims
    .group_segment_fixed_size: 0
    .kernarg_segment_align: 8
    .kernarg_segment_size: 320
    .language:       OpenCL C
    .language_version:
      - 2
      - 0
    .max_flat_workgroup_size: 1024
    .name:           _ZN12_GLOBAL__N_137randperm_handle_duplicate_keys_kernelIlN2at6native12_GLOBAL__N_110OpaqueTypeILi4EEEEEvPT_PT0_S6_iNS1_15PhiloxCudaStateE
    .private_segment_fixed_size: 0
    .sgpr_count:     30
    .sgpr_spill_count: 0
    .symbol:         _ZN12_GLOBAL__N_137randperm_handle_duplicate_keys_kernelIlN2at6native12_GLOBAL__N_110OpaqueTypeILi4EEEEEvPT_PT0_S6_iNS1_15PhiloxCudaStateE.kd
    .uniform_work_group_size: 1
    .uses_dynamic_stack: false
    .vgpr_count:     50
    .vgpr_spill_count: 0
    .wavefront_size: 64
  - .agpr_count:     0
    .args:
      - .address_space:  global
        .offset:         0
        .size:           8
        .value_kind:     global_buffer
      - .address_space:  global
        .offset:         8
        .size:           8
        .value_kind:     global_buffer
      - .offset:         16
        .size:           8
        .value_kind:     by_value
      - .offset:         24
        .size:           4
        .value_kind:     by_value
      - .offset:         32
        .size:           32
        .value_kind:     by_value
      - .offset:         64
        .size:           4
        .value_kind:     hidden_block_count_x
      - .offset:         68
        .size:           4
        .value_kind:     hidden_block_count_y
      - .offset:         72
        .size:           4
        .value_kind:     hidden_block_count_z
      - .offset:         76
        .size:           2
        .value_kind:     hidden_group_size_x
      - .offset:         78
        .size:           2
        .value_kind:     hidden_group_size_y
      - .offset:         80
        .size:           2
        .value_kind:     hidden_group_size_z
      - .offset:         82
        .size:           2
        .value_kind:     hidden_remainder_x
      - .offset:         84
        .size:           2
        .value_kind:     hidden_remainder_y
      - .offset:         86
        .size:           2
        .value_kind:     hidden_remainder_z
      - .offset:         104
        .size:           8
        .value_kind:     hidden_global_offset_x
      - .offset:         112
        .size:           8
        .value_kind:     hidden_global_offset_y
      - .offset:         120
        .size:           8
        .value_kind:     hidden_global_offset_z
      - .offset:         128
        .size:           2
        .value_kind:     hidden_grid_dims
    .group_segment_fixed_size: 0
    .kernarg_segment_align: 8
    .kernarg_segment_size: 320
    .language:       OpenCL C
    .language_version:
      - 2
      - 0
    .max_flat_workgroup_size: 1024
    .name:           _ZN12_GLOBAL__N_137randperm_handle_duplicate_keys_kernelIlN2at6native12_GLOBAL__N_110OpaqueTypeILi8EEEEEvPT_PT0_S6_iNS1_15PhiloxCudaStateE
    .private_segment_fixed_size: 0
    .sgpr_count:     30
    .sgpr_spill_count: 0
    .symbol:         _ZN12_GLOBAL__N_137randperm_handle_duplicate_keys_kernelIlN2at6native12_GLOBAL__N_110OpaqueTypeILi8EEEEEvPT_PT0_S6_iNS1_15PhiloxCudaStateE.kd
    .uniform_work_group_size: 1
    .uses_dynamic_stack: false
    .vgpr_count:     50
    .vgpr_spill_count: 0
    .wavefront_size: 64
  - .agpr_count:     0
    .args:
      - .address_space:  global
        .offset:         0
        .size:           8
        .value_kind:     global_buffer
      - .address_space:  global
        .offset:         8
        .size:           8
        .value_kind:     global_buffer
      - .offset:         16
        .size:           8
        .value_kind:     by_value
      - .offset:         24
        .size:           4
        .value_kind:     by_value
      - .offset:         32
        .size:           32
        .value_kind:     by_value
      - .offset:         64
        .size:           4
        .value_kind:     hidden_block_count_x
      - .offset:         68
        .size:           4
        .value_kind:     hidden_block_count_y
      - .offset:         72
        .size:           4
        .value_kind:     hidden_block_count_z
      - .offset:         76
        .size:           2
        .value_kind:     hidden_group_size_x
      - .offset:         78
        .size:           2
        .value_kind:     hidden_group_size_y
      - .offset:         80
        .size:           2
        .value_kind:     hidden_group_size_z
      - .offset:         82
        .size:           2
        .value_kind:     hidden_remainder_x
      - .offset:         84
        .size:           2
        .value_kind:     hidden_remainder_y
      - .offset:         86
        .size:           2
        .value_kind:     hidden_remainder_z
      - .offset:         104
        .size:           8
        .value_kind:     hidden_global_offset_x
      - .offset:         112
        .size:           8
        .value_kind:     hidden_global_offset_y
      - .offset:         120
        .size:           8
        .value_kind:     hidden_global_offset_z
      - .offset:         128
        .size:           2
        .value_kind:     hidden_grid_dims
    .group_segment_fixed_size: 0
    .kernarg_segment_align: 8
    .kernarg_segment_size: 320
    .language:       OpenCL C
    .language_version:
      - 2
      - 0
    .max_flat_workgroup_size: 1024
    .name:           _ZN12_GLOBAL__N_137randperm_handle_duplicate_keys_kernelIlN2at6native12_GLOBAL__N_110OpaqueTypeILi2EEEEEvPT_PT0_S6_iNS1_15PhiloxCudaStateE
    .private_segment_fixed_size: 0
    .sgpr_count:     30
    .sgpr_spill_count: 0
    .symbol:         _ZN12_GLOBAL__N_137randperm_handle_duplicate_keys_kernelIlN2at6native12_GLOBAL__N_110OpaqueTypeILi2EEEEEvPT_PT0_S6_iNS1_15PhiloxCudaStateE.kd
    .uniform_work_group_size: 1
    .uses_dynamic_stack: false
    .vgpr_count:     50
    .vgpr_spill_count: 0
    .wavefront_size: 64
amdhsa.target:   amdgcn-amd-amdhsa--gfx90a
amdhsa.version:
  - 1
  - 2
...

	.end_amdgpu_metadata
